;; amdgpu-corpus repo=ROCm/rocFFT kind=compiled arch=gfx1030 opt=O3
	.text
	.amdgcn_target "amdgcn-amd-amdhsa--gfx1030"
	.amdhsa_code_object_version 6
	.protected	bluestein_single_fwd_len442_dim1_dp_op_CI_CI ; -- Begin function bluestein_single_fwd_len442_dim1_dp_op_CI_CI
	.globl	bluestein_single_fwd_len442_dim1_dp_op_CI_CI
	.p2align	8
	.type	bluestein_single_fwd_len442_dim1_dp_op_CI_CI,@function
bluestein_single_fwd_len442_dim1_dp_op_CI_CI: ; @bluestein_single_fwd_len442_dim1_dp_op_CI_CI
; %bb.0:
	s_mov_b64 s[62:63], s[2:3]
	s_mov_b64 s[60:61], s[0:1]
	s_load_dwordx4 s[0:3], s[4:5], 0x28
	v_mul_u32_u24_e32 v1, 0x788, v0
	s_add_u32 s60, s60, s7
	s_addc_u32 s61, s61, 0
	v_lshrrev_b32_e32 v1, 16, v1
	v_mad_u64_u32 v[156:157], null, s6, 7, v[1:2]
	v_mov_b32_e32 v157, 0
                                        ; kill: def $vgpr2 killed $sgpr0 killed $exec
	s_waitcnt lgkmcnt(0)
	v_cmp_gt_u64_e32 vcc_lo, s[0:1], v[156:157]
	s_and_saveexec_b32 s0, vcc_lo
	s_cbranch_execz .LBB0_23
; %bb.1:
	v_mul_hi_u32 v2, 0x24924925, v156
	v_mul_lo_u16 v1, v1, 34
	s_clause 0x1
	s_load_dwordx2 s[12:13], s[4:5], 0x0
	s_load_dwordx2 s[14:15], s[4:5], 0x38
	v_sub_nc_u16 v0, v0, v1
	v_sub_nc_u32_e32 v3, v156, v2
	v_cmp_gt_u16_e32 vcc_lo, 26, v0
	v_lshrrev_b32_e32 v3, 1, v3
	v_add_nc_u32_e32 v2, v3, v2
	v_lshrrev_b32_e32 v2, 2, v2
	v_mul_lo_u32 v2, v2, 7
	v_sub_nc_u32_e32 v1, v156, v2
	v_and_b32_e32 v2, 0xffff, v0
	v_mul_u32_u24_e32 v255, 0x1ba, v1
	v_lshlrev_b32_e32 v0, 4, v255
	buffer_store_dword v0, off, s[60:63], 0 offset:4 ; 4-byte Folded Spill
	buffer_store_dword v2, off, s[60:63], 0 ; 4-byte Folded Spill
	v_or_b32_e32 v0, 0x1a0, v2
	buffer_store_dword v0, off, s[60:63], 0 offset:240 ; 4-byte Folded Spill
	s_and_saveexec_b32 s1, vcc_lo
	s_cbranch_execz .LBB0_3
; %bb.2:
	buffer_load_dword v155, off, s[60:63], 0 ; 4-byte Folded Reload
	s_load_dwordx2 s[6:7], s[4:5], 0x18
	s_waitcnt lgkmcnt(0)
	s_load_dwordx4 s[8:11], s[6:7], 0x0
	s_waitcnt lgkmcnt(0)
	v_mad_u64_u32 v[60:61], null, s10, v156, 0
	s_mul_i32 s6, s9, 0x1a0
	s_mul_hi_u32 s7, s8, 0x1a0
	s_add_i32 s7, s7, s6
	v_mov_b32_e32 v44, v61
	s_waitcnt vmcnt(0)
	v_mad_u64_u32 v[62:63], null, s8, v155, 0
	v_lshlrev_b32_e32 v154, 4, v155
	v_or_b32_e32 v68, 0x1a0, v155
	s_clause 0x3
	global_load_dwordx4 v[0:3], v154, s[12:13] offset:416
	global_load_dwordx4 v[4:7], v154, s[12:13] offset:832
	;; [unrolled: 1-line block ×4, first 2 shown]
	v_mov_b32_e32 v45, v63
	v_add_co_u32 v16, s0, s12, v154
	v_add_co_ci_u32_e64 v17, null, s13, 0, s0
	v_mad_u64_u32 v[63:64], null, s11, v156, v[44:45]
	v_mad_u64_u32 v[66:67], null, s9, v155, v[45:46]
	v_add_co_u32 v40, s0, 0x800, v16
	v_add_co_ci_u32_e64 v41, s0, 0, v17, s0
	v_mov_b32_e32 v61, v63
	v_add_co_u32 v120, s0, 0x1000, v16
	v_mov_b32_e32 v63, v66
	v_add_co_ci_u32_e64 v121, s0, 0, v17, s0
	v_lshlrev_b64 v[60:61], 4, v[60:61]
	v_mad_u64_u32 v[64:65], null, s8, v68, 0
	v_add_co_u32 v128, s0, 0x1800, v16
	v_add_co_ci_u32_e64 v129, s0, 0, v17, s0
	v_lshlrev_b64 v[62:63], 4, v[62:63]
	v_add_co_u32 v70, s0, s2, v60
	v_add_co_ci_u32_e64 v71, s0, s3, v61, s0
	v_mad_u64_u32 v[65:66], null, s9, v68, v[65:66]
	v_add_co_u32 v66, s0, v70, v62
	v_add_co_ci_u32_e64 v67, s0, v71, v63, s0
	s_mulk_i32 s8, 0x1a0
	v_lshlrev_b32_e32 v20, 4, v68
	v_add_co_u32 v68, s0, v66, s8
	v_add_co_ci_u32_e64 v69, s0, s7, v67, s0
	v_lshlrev_b64 v[60:61], 4, v[64:65]
	v_add_co_u32 v72, s0, v68, s8
	v_add_co_ci_u32_e64 v73, s0, s7, v69, s0
	s_clause 0x3
	global_load_dwordx4 v[16:19], v154, s[12:13]
	global_load_dwordx4 v[20:23], v20, s[12:13]
	global_load_dwordx4 v[24:27], v[40:41], off offset:32
	global_load_dwordx4 v[28:31], v[40:41], off offset:448
	v_add_co_u32 v60, s0, v70, v60
	v_add_co_ci_u32_e64 v61, s0, v71, v61, s0
	v_add_co_u32 v76, s0, v72, s8
	v_add_co_ci_u32_e64 v77, s0, s7, v73, s0
	s_clause 0x2
	global_load_dwordx4 v[32:35], v[40:41], off offset:864
	global_load_dwordx4 v[36:39], v[40:41], off offset:1280
	;; [unrolled: 1-line block ×3, first 2 shown]
	v_add_co_u32 v80, s0, v76, s8
	v_add_co_ci_u32_e64 v81, s0, s7, v77, s0
	s_clause 0x3
	global_load_dwordx4 v[44:47], v[120:121], off offset:64
	global_load_dwordx4 v[48:51], v[120:121], off offset:480
	;; [unrolled: 1-line block ×4, first 2 shown]
	v_add_co_u32 v84, s0, v80, s8
	v_add_co_ci_u32_e64 v85, s0, s7, v81, s0
	global_load_dwordx4 v[60:63], v[60:61], off
	v_add_co_u32 v88, s0, v84, s8
	v_add_co_ci_u32_e64 v89, s0, s7, v85, s0
	s_clause 0x1
	global_load_dwordx4 v[64:67], v[66:67], off
	global_load_dwordx4 v[68:71], v[68:69], off
	v_add_co_u32 v92, s0, v88, s8
	v_add_co_ci_u32_e64 v93, s0, s7, v89, s0
	s_clause 0x1
	global_load_dwordx4 v[72:75], v[72:73], off
	global_load_dwordx4 v[76:79], v[76:77], off
	v_add_co_u32 v96, s0, v92, s8
	v_add_co_ci_u32_e64 v97, s0, s7, v93, s0
	global_load_dwordx4 v[80:83], v[80:81], off
	v_add_co_u32 v100, s0, v96, s8
	v_add_co_ci_u32_e64 v101, s0, s7, v97, s0
	;; [unrolled: 3-line block ×7, first 2 shown]
	global_load_dwordx4 v[104:107], v[104:105], off
	global_load_dwordx4 v[108:111], v[108:109], off
	;; [unrolled: 1-line block ×3, first 2 shown]
	v_add_co_u32 v132, s0, v124, s8
	v_add_co_ci_u32_e64 v133, s0, s7, v125, s0
	global_load_dwordx4 v[116:119], v[116:117], off
	global_load_dwordx4 v[120:123], v[120:121], off offset:1728
	global_load_dwordx4 v[124:127], v[124:125], off
	global_load_dwordx4 v[128:131], v[128:129], off offset:96
	global_load_dwordx4 v[132:135], v[132:133], off
	s_waitcnt vmcnt(18)
	v_mul_f64 v[138:139], v[62:63], v[22:23]
	v_mul_f64 v[152:153], v[60:61], v[22:23]
	s_waitcnt vmcnt(17)
	v_mul_f64 v[136:137], v[66:67], v[18:19]
	v_mul_f64 v[18:19], v[64:65], v[18:19]
	s_waitcnt vmcnt(16)
	v_mul_f64 v[140:141], v[70:71], v[2:3]
	v_mul_f64 v[142:143], v[68:69], v[2:3]
	s_waitcnt vmcnt(15)
	v_mul_f64 v[144:145], v[74:75], v[6:7]
	v_mul_f64 v[6:7], v[72:73], v[6:7]
	s_waitcnt vmcnt(14)
	v_mul_f64 v[146:147], v[78:79], v[10:11]
	v_mul_f64 v[10:11], v[76:77], v[10:11]
	s_waitcnt vmcnt(13)
	v_mul_f64 v[148:149], v[82:83], v[14:15]
	v_mul_f64 v[150:151], v[80:81], v[14:15]
	v_fma_f64 v[2:3], v[60:61], v[20:21], v[138:139]
	v_fma_f64 v[14:15], v[64:65], v[16:17], v[136:137]
	v_fma_f64 v[16:17], v[66:67], v[16:17], -v[18:19]
	s_waitcnt vmcnt(12)
	v_mul_f64 v[18:19], v[86:87], v[26:27]
	v_mul_f64 v[26:27], v[84:85], v[26:27]
	v_fma_f64 v[64:65], v[68:69], v[0:1], v[140:141]
	v_fma_f64 v[66:67], v[70:71], v[0:1], -v[142:143]
	s_waitcnt vmcnt(11)
	v_mul_f64 v[0:1], v[90:91], v[30:31]
	v_mul_f64 v[30:31], v[88:89], v[30:31]
	;; [unrolled: 5-line block ×3, first 2 shown]
	s_waitcnt vmcnt(9)
	v_mul_f64 v[60:61], v[98:99], v[38:39]
	v_mul_f64 v[38:39], v[96:97], v[38:39]
	s_waitcnt vmcnt(8)
	v_mul_f64 v[72:73], v[102:103], v[42:43]
	v_mul_f64 v[42:43], v[100:101], v[42:43]
	v_fma_f64 v[6:7], v[76:77], v[8:9], v[146:147]
	v_fma_f64 v[8:9], v[78:79], v[8:9], -v[10:11]
	v_fma_f64 v[10:11], v[80:81], v[12:13], v[148:149]
	s_waitcnt vmcnt(7)
	v_mul_f64 v[74:75], v[106:107], v[46:47]
	v_mul_f64 v[46:47], v[104:105], v[46:47]
	s_waitcnt vmcnt(6)
	v_mul_f64 v[76:77], v[110:111], v[50:51]
	v_mul_f64 v[50:51], v[108:109], v[50:51]
	s_waitcnt vmcnt(5)
	v_mul_f64 v[78:79], v[114:115], v[54:55]
	v_mul_f64 v[54:55], v[112:113], v[54:55]
	s_waitcnt vmcnt(4)
	v_mul_f64 v[80:81], v[118:119], v[58:59]
	v_mul_f64 v[58:59], v[116:117], v[58:59]
	v_fma_f64 v[12:13], v[82:83], v[12:13], -v[150:151]
	s_waitcnt vmcnt(2)
	v_mul_f64 v[82:83], v[126:127], v[122:123]
	v_mul_f64 v[122:123], v[124:125], v[122:123]
	s_waitcnt vmcnt(0)
	v_mul_f64 v[136:137], v[134:135], v[130:131]
	v_mul_f64 v[130:131], v[132:133], v[130:131]
	v_fma_f64 v[22:23], v[84:85], v[24:25], v[18:19]
	v_fma_f64 v[24:25], v[86:87], v[24:25], -v[26:27]
	v_fma_f64 v[26:27], v[88:89], v[28:29], v[0:1]
	v_fma_f64 v[28:29], v[90:91], v[28:29], -v[30:31]
	;; [unrolled: 2-line block ×8, first 2 shown]
	v_lshlrev_b32_e32 v1, 4, v255
	v_fma_f64 v[54:55], v[116:117], v[56:57], v[80:81]
	v_fma_f64 v[56:57], v[118:119], v[56:57], -v[58:59]
	v_fma_f64 v[58:59], v[124:125], v[120:121], v[82:83]
	v_fma_f64 v[60:61], v[126:127], v[120:121], -v[122:123]
	;; [unrolled: 2-line block ×3, first 2 shown]
	v_fma_f64 v[4:5], v[62:63], v[20:21], -v[152:153]
	v_lshl_add_u32 v0, v155, 4, v1
	v_add_nc_u32_e32 v1, v1, v154
	ds_write_b128 v0, v[14:17]
	ds_write_b128 v1, v[64:67] offset:416
	ds_write_b128 v1, v[68:71] offset:832
	;; [unrolled: 1-line block ×16, first 2 shown]
.LBB0_3:
	s_or_b32 exec_lo, exec_lo, s1
	s_waitcnt lgkmcnt(0)
	s_waitcnt_vscnt null, 0x0
	s_barrier
	buffer_gl0_inv
                                        ; implicit-def: $vgpr12_vgpr13
                                        ; implicit-def: $vgpr40_vgpr41
                                        ; implicit-def: $vgpr44_vgpr45
                                        ; implicit-def: $vgpr52_vgpr53
                                        ; implicit-def: $vgpr56_vgpr57
                                        ; implicit-def: $vgpr60_vgpr61
                                        ; implicit-def: $vgpr68_vgpr69
                                        ; implicit-def: $vgpr72_vgpr73
                                        ; implicit-def: $vgpr76_vgpr77
                                        ; implicit-def: $vgpr80_vgpr81
                                        ; implicit-def: $vgpr84_vgpr85
                                        ; implicit-def: $vgpr64_vgpr65
                                        ; implicit-def: $vgpr48_vgpr49
                                        ; implicit-def: $vgpr36_vgpr37
                                        ; implicit-def: $vgpr32_vgpr33
                                        ; implicit-def: $vgpr28_vgpr29
                                        ; implicit-def: $vgpr24_vgpr25
	s_and_saveexec_b32 s0, vcc_lo
	s_cbranch_execz .LBB0_5
; %bb.4:
	buffer_load_dword v0, off, s[60:63], 0  ; 4-byte Folded Reload
	s_waitcnt vmcnt(0)
	v_lshlrev_b32_e32 v0, 4, v0
	v_lshl_add_u32 v0, v255, 4, v0
	ds_read_b128 v[12:15], v0
	ds_read_b128 v[40:43], v0 offset:416
	ds_read_b128 v[44:47], v0 offset:832
	;; [unrolled: 1-line block ×16, first 2 shown]
.LBB0_5:
	s_or_b32 exec_lo, exec_lo, s0
	s_waitcnt lgkmcnt(0)
	v_add_f64 v[142:143], v[42:43], -v[26:27]
	v_add_f64 v[167:168], v[40:41], -v[24:25]
	s_mov_b32 s0, 0x5d8e7cdc
	s_mov_b32 s1, 0xbfd71e95
	v_add_f64 v[94:95], v[46:47], -v[30:31]
	v_add_f64 v[90:91], v[44:45], -v[28:29]
	s_mov_b32 s10, 0x2a9d6da3
	s_mov_b32 s11, 0xbfe58eea
	v_add_f64 v[96:97], v[54:55], -v[34:35]
	v_add_f64 v[98:99], v[52:53], -v[32:33]
	s_mov_b32 s8, 0x7c9e640b
	s_mov_b32 s9, 0xbfeca52d
	v_add_f64 v[108:109], v[58:59], -v[38:39]
	v_add_f64 v[104:105], v[56:57], -v[36:37]
	s_mov_b32 s22, 0xeb564b22
	s_mov_b32 s23, 0xbfefdd0d
	v_add_f64 v[140:141], v[40:41], v[24:25]
	v_add_f64 v[165:166], v[42:43], v[26:27]
	s_mov_b32 s18, 0x370991
	s_mov_b32 s19, 0x3fedd6d0
	v_add_f64 v[88:89], v[44:45], v[28:29]
	v_add_f64 v[102:103], v[46:47], v[30:31]
	v_mul_f64 v[0:1], v[142:143], s[0:1]
	v_mul_f64 v[2:3], v[167:168], s[0:1]
	s_mov_b32 s16, 0x75d4884
	s_mov_b32 s17, 0x3fe7a5f6
	v_mul_f64 v[4:5], v[94:95], s[10:11]
	v_mul_f64 v[6:7], v[90:91], s[10:11]
	v_add_f64 v[110:111], v[54:55], v[34:35]
	s_mov_b32 s20, 0x2b2883cd
	v_mul_f64 v[8:9], v[96:97], s[8:9]
	v_mul_f64 v[16:17], v[98:99], s[8:9]
	s_mov_b32 s21, 0x3fdc86fa
	v_add_f64 v[120:121], v[58:59], v[38:39]
	v_mul_f64 v[10:11], v[108:109], s[22:23]
	v_mul_f64 v[18:19], v[104:105], s[22:23]
	s_mov_b32 s24, 0x3259b75e
	s_mov_b32 s25, 0x3fb79ee6
	v_add_f64 v[114:115], v[62:63], -v[50:51]
	s_mov_b32 s28, 0x923c349f
	s_mov_b32 s29, 0xbfeec746
	v_add_f64 v[92:93], v[52:53], v[32:33]
	v_add_f64 v[100:101], v[56:57], v[36:37]
	;; [unrolled: 1-line block ×3, first 2 shown]
	buffer_store_dword v0, off, s[60:63], 0 offset:64 ; 4-byte Folded Spill
	buffer_store_dword v1, off, s[60:63], 0 offset:68 ; 4-byte Folded Spill
	;; [unrolled: 1-line block ×16, first 2 shown]
	s_mov_b32 s26, 0xc61f0d01
	s_mov_b32 s27, 0xbfd183b1
	v_add_f64 v[118:119], v[60:61], -v[48:49]
	v_add_f64 v[144:145], v[62:63], v[50:51]
	v_add_f64 v[116:117], v[70:71], -v[66:67]
	s_mov_b32 s34, 0x6c9a05f6
	s_mov_b32 s35, 0xbfe9895b
	v_add_f64 v[112:113], v[68:69], v[64:65]
	v_add_f64 v[126:127], v[68:69], -v[64:65]
	s_mov_b32 s30, 0x6ed5f1bb
	s_mov_b32 s31, 0xbfe348c8
	;; [unrolled: 4-line block ×3, first 2 shown]
	s_mov_b32 s49, 0xbfe0d888
	s_mov_b32 s48, s40
	v_add_f64 v[122:123], v[72:73], v[84:85]
	v_add_f64 v[130:131], v[72:73], -v[84:85]
	s_mov_b32 s38, 0x910ea3b9
	s_mov_b32 s39, 0xbfeb34fa
	v_add_f64 v[136:137], v[74:75], v[86:87]
	v_add_f64 v[132:133], v[78:79], -v[82:83]
	;; [unrolled: 4-line block ×3, first 2 shown]
	s_mov_b32 s36, 0x7faef3
	s_mov_b32 s37, 0xbfef7484
	v_add_f64 v[138:139], v[78:79], v[82:83]
	v_mul_f64 v[217:218], v[126:127], s[34:35]
	v_mul_f64 v[195:196], v[142:143], s[10:11]
	;; [unrolled: 1-line block ×13, first 2 shown]
	s_mov_b32 s45, 0x3feec746
	v_mul_f64 v[219:220], v[132:133], s[42:43]
	s_mov_b32 s44, s28
	s_mov_b32 s47, 0x3feca52d
	v_mul_f64 v[237:238], v[116:117], s[44:45]
	v_mul_f64 v[227:228], v[134:135], s[42:43]
	;; [unrolled: 1-line block ×3, first 2 shown]
	s_mov_b32 s46, s8
	s_mov_b32 s53, 0x3fd71e95
	v_mul_f64 v[239:240], v[128:129], s[46:47]
	v_mul_f64 v[251:252], v[130:131], s[46:47]
	s_mov_b32 s52, s0
	v_mul_f64 v[199:200], v[142:143], s[8:9]
	v_mul_f64 v[247:248], v[132:133], s[52:53]
	;; [unrolled: 1-line block ×6, first 2 shown]
	s_mov_b32 s51, 0x3fc7851a
	s_mov_b32 s50, s42
	v_mul_f64 v[152:153], v[108:109], s[44:45]
	v_mul_f64 v[253:254], v[96:97], s[50:51]
	;; [unrolled: 1-line block ×4, first 2 shown]
	s_mov_b32 s55, 0x3fe58eea
	s_mov_b32 s54, s10
	v_mul_f64 v[163:164], v[116:117], s[0:1]
	v_mul_f64 v[161:162], v[114:115], s[54:55]
	;; [unrolled: 1-line block ×18, first 2 shown]
	s_mov_b32 s59, 0x3fe9895b
	s_mov_b32 s58, s34
	v_mul_f64 v[211:212], v[90:91], s[40:41]
	v_mul_f64 v[207:208], v[142:143], s[28:29]
	;; [unrolled: 1-line block ×3, first 2 shown]
	s_mov_b32 s57, 0x3fefdd0d
	s_mov_b32 s56, s22
	v_fma_f64 v[20:21], v[102:103], s[36:37], -v[185:186]
	v_fma_f64 v[0:1], v[140:141], s[18:19], v[0:1]
	v_fma_f64 v[2:3], v[165:166], s[18:19], -v[2:3]
	v_fma_f64 v[4:5], v[88:89], s[16:17], v[4:5]
	;; [unrolled: 2-line block ×3, first 2 shown]
	v_add_f64 v[0:1], v[12:13], v[0:1]
	v_add_f64 v[2:3], v[14:15], v[2:3]
	v_add_f64 v[0:1], v[4:5], v[0:1]
	v_add_f64 v[2:3], v[6:7], v[2:3]
	v_fma_f64 v[4:5], v[110:111], s[20:21], -v[16:17]
	v_fma_f64 v[6:7], v[100:101], s[24:25], v[10:11]
	v_fma_f64 v[10:11], v[88:89], s[30:31], v[249:250]
	v_fma_f64 v[16:17], v[102:103], s[30:31], -v[154:155]
	v_add_f64 v[0:1], v[8:9], v[0:1]
	v_fma_f64 v[8:9], v[102:103], s[24:25], -v[231:232]
	v_add_f64 v[2:3], v[4:5], v[2:3]
	v_fma_f64 v[4:5], v[120:121], s[24:25], -v[18:19]
	v_fma_f64 v[18:19], v[88:89], s[36:37], v[148:149]
	v_add_f64 v[0:1], v[6:7], v[0:1]
	v_fma_f64 v[6:7], v[88:89], s[24:25], v[223:224]
	v_add_f64 v[2:3], v[4:5], v[2:3]
	v_mul_f64 v[4:5], v[114:115], s[28:29]
	buffer_store_dword v4, off, s[60:63], 0 offset:56 ; 4-byte Folded Spill
	buffer_store_dword v5, off, s[60:63], 0 offset:60 ; 4-byte Folded Spill
	v_fma_f64 v[4:5], v[106:107], s[26:27], v[4:5]
	v_add_f64 v[0:1], v[4:5], v[0:1]
	v_mul_f64 v[4:5], v[118:119], s[28:29]
	buffer_store_dword v4, off, s[60:63], 0 offset:340 ; 4-byte Folded Spill
	buffer_store_dword v5, off, s[60:63], 0 offset:344 ; 4-byte Folded Spill
	v_fma_f64 v[4:5], v[144:145], s[26:27], -v[4:5]
	v_add_f64 v[2:3], v[4:5], v[2:3]
	v_mul_f64 v[4:5], v[116:117], s[34:35]
	buffer_store_dword v4, off, s[60:63], 0 offset:332 ; 4-byte Folded Spill
	buffer_store_dword v5, off, s[60:63], 0 offset:336 ; 4-byte Folded Spill
	v_fma_f64 v[4:5], v[112:113], s[30:31], v[4:5]
	v_add_f64 v[0:1], v[4:5], v[0:1]
	v_fma_f64 v[4:5], v[146:147], s[30:31], -v[217:218]
	v_add_f64 v[2:3], v[4:5], v[2:3]
	v_fma_f64 v[4:5], v[122:123], s[38:39], v[215:216]
	v_add_f64 v[0:1], v[4:5], v[0:1]
	v_fma_f64 v[4:5], v[136:137], s[38:39], -v[221:222]
	v_add_f64 v[2:3], v[4:5], v[2:3]
	v_fma_f64 v[4:5], v[124:125], s[36:37], v[219:220]
	v_add_f64 v[0:1], v[4:5], v[0:1]
	v_fma_f64 v[4:5], v[138:139], s[36:37], -v[227:228]
	v_add_f64 v[2:3], v[4:5], v[2:3]
	v_fma_f64 v[4:5], v[140:141], s[16:17], v[195:196]
	v_add_f64 v[4:5], v[12:13], v[4:5]
	v_add_f64 v[4:5], v[6:7], v[4:5]
	v_fma_f64 v[6:7], v[165:166], s[16:17], -v[197:198]
	v_add_f64 v[6:7], v[14:15], v[6:7]
	v_add_f64 v[6:7], v[8:9], v[6:7]
	v_fma_f64 v[8:9], v[92:93], s[30:31], v[225:226]
	v_add_f64 v[4:5], v[8:9], v[4:5]
	v_fma_f64 v[8:9], v[110:111], s[30:31], -v[235:236]
	v_add_f64 v[6:7], v[8:9], v[6:7]
	v_fma_f64 v[8:9], v[100:101], s[36:37], v[229:230]
	v_add_f64 v[4:5], v[8:9], v[4:5]
	v_fma_f64 v[8:9], v[120:121], s[36:37], -v[241:242]
	v_add_f64 v[6:7], v[8:9], v[6:7]
	v_fma_f64 v[8:9], v[106:107], s[38:39], v[233:234]
	v_add_f64 v[4:5], v[8:9], v[4:5]
	v_fma_f64 v[8:9], v[144:145], s[38:39], -v[243:244]
	v_add_f64 v[6:7], v[8:9], v[6:7]
	v_fma_f64 v[8:9], v[112:113], s[26:27], v[237:238]
	v_add_f64 v[4:5], v[8:9], v[4:5]
	v_fma_f64 v[8:9], v[146:147], s[26:27], -v[245:246]
	v_add_f64 v[6:7], v[8:9], v[6:7]
	v_fma_f64 v[8:9], v[122:123], s[20:21], v[239:240]
	v_add_f64 v[4:5], v[8:9], v[4:5]
	v_fma_f64 v[8:9], v[136:137], s[20:21], -v[251:252]
	v_add_f64 v[6:7], v[8:9], v[6:7]
	v_fma_f64 v[8:9], v[124:125], s[18:19], v[247:248]
	v_add_f64 v[4:5], v[8:9], v[4:5]
	v_fma_f64 v[8:9], v[138:139], s[18:19], -v[150:151]
	v_add_f64 v[6:7], v[8:9], v[6:7]
	v_fma_f64 v[8:9], v[140:141], s[20:21], v[199:200]
	v_add_f64 v[8:9], v[12:13], v[8:9]
	v_add_f64 v[8:9], v[10:11], v[8:9]
	v_fma_f64 v[10:11], v[165:166], s[20:21], -v[201:202]
	v_add_f64 v[10:11], v[14:15], v[10:11]
	v_add_f64 v[10:11], v[16:17], v[10:11]
	v_fma_f64 v[16:17], v[92:93], s[36:37], v[253:254]
	v_add_f64 v[8:9], v[16:17], v[8:9]
	v_fma_f64 v[16:17], v[110:111], s[36:37], -v[169:170]
	v_add_f64 v[10:11], v[16:17], v[10:11]
	v_fma_f64 v[16:17], v[100:101], s[26:27], v[152:153]
	v_add_f64 v[8:9], v[16:17], v[8:9]
	v_fma_f64 v[16:17], v[120:121], s[26:27], -v[175:176]
	v_add_f64 v[10:11], v[16:17], v[10:11]
	v_fma_f64 v[16:17], v[106:107], s[16:17], v[161:162]
	v_add_f64 v[8:9], v[16:17], v[8:9]
	v_fma_f64 v[16:17], v[144:145], s[16:17], -v[187:188]
	v_add_f64 v[10:11], v[16:17], v[10:11]
	;; [unrolled: 30-line block ×3, first 2 shown]
	v_mul_f64 v[20:21], v[116:117], s[48:49]
	buffer_store_dword v20, off, s[60:63], 0 offset:128 ; 4-byte Folded Spill
	buffer_store_dword v21, off, s[60:63], 0 offset:132 ; 4-byte Folded Spill
	v_fma_f64 v[20:21], v[112:113], s[38:39], v[20:21]
	v_add_f64 v[16:17], v[20:21], v[16:17]
	v_mul_f64 v[20:21], v[126:127], s[48:49]
	buffer_store_dword v20, off, s[60:63], 0 offset:208 ; 4-byte Folded Spill
	buffer_store_dword v21, off, s[60:63], 0 offset:212 ; 4-byte Folded Spill
	v_fma_f64 v[20:21], v[146:147], s[38:39], -v[20:21]
	v_add_f64 v[18:19], v[20:21], v[18:19]
	v_mul_f64 v[20:21], v[128:129], s[58:59]
	buffer_store_dword v20, off, s[60:63], 0 offset:144 ; 4-byte Folded Spill
	buffer_store_dword v21, off, s[60:63], 0 offset:148 ; 4-byte Folded Spill
	v_fma_f64 v[20:21], v[122:123], s[30:31], v[20:21]
	v_add_f64 v[16:17], v[20:21], v[16:17]
	v_mul_f64 v[20:21], v[130:131], s[58:59]
	buffer_store_dword v20, off, s[60:63], 0 offset:224 ; 4-byte Folded Spill
	buffer_store_dword v21, off, s[60:63], 0 offset:228 ; 4-byte Folded Spill
	v_fma_f64 v[20:21], v[136:137], s[30:31], -v[20:21]
	v_add_f64 v[18:19], v[20:21], v[18:19]
	;; [unrolled: 10-line block ×3, first 2 shown]
	v_mul_f64 v[18:19], v[94:95], s[40:41]
	buffer_store_dword v18, off, s[60:63], 0 offset:96 ; 4-byte Folded Spill
	buffer_store_dword v19, off, s[60:63], 0 offset:100 ; 4-byte Folded Spill
	;; [unrolled: 1-line block ×4, first 2 shown]
	v_fma_f64 v[16:17], v[140:141], s[26:27], v[207:208]
	v_add_f64 v[16:17], v[12:13], v[16:17]
	v_fma_f64 v[18:19], v[88:89], s[38:39], v[18:19]
	v_fma_f64 v[213:214], v[102:103], s[38:39], -v[211:212]
	v_mul_f64 v[211:212], v[96:97], s[54:55]
	buffer_store_dword v211, off, s[60:63], 0 offset:112 ; 4-byte Folded Spill
	buffer_store_dword v212, off, s[60:63], 0 offset:116 ; 4-byte Folded Spill
	v_add_f64 v[16:17], v[18:19], v[16:17]
	v_fma_f64 v[18:19], v[165:166], s[26:27], -v[209:210]
	v_add_f64 v[18:19], v[14:15], v[18:19]
	v_add_f64 v[18:19], v[213:214], v[18:19]
	v_fma_f64 v[213:214], v[92:93], s[16:17], v[211:212]
	v_mul_f64 v[211:212], v[98:99], s[54:55]
	buffer_store_dword v211, off, s[60:63], 0 offset:292 ; 4-byte Folded Spill
	buffer_store_dword v212, off, s[60:63], 0 offset:296 ; 4-byte Folded Spill
	v_add_f64 v[16:17], v[213:214], v[16:17]
	v_fma_f64 v[213:214], v[110:111], s[16:17], -v[211:212]
	v_mul_f64 v[211:212], v[108:109], s[8:9]
	buffer_store_dword v211, off, s[60:63], 0 offset:176 ; 4-byte Folded Spill
	buffer_store_dword v212, off, s[60:63], 0 offset:180 ; 4-byte Folded Spill
	v_add_f64 v[18:19], v[213:214], v[18:19]
	v_fma_f64 v[213:214], v[100:101], s[20:21], v[211:212]
	v_mul_f64 v[211:212], v[104:105], s[8:9]
	buffer_store_dword v211, off, s[60:63], 0 offset:316 ; 4-byte Folded Spill
	buffer_store_dword v212, off, s[60:63], 0 offset:320 ; 4-byte Folded Spill
	v_add_f64 v[16:17], v[213:214], v[16:17]
	v_fma_f64 v[213:214], v[120:121], s[20:21], -v[211:212]
	v_mul_f64 v[211:212], v[114:115], s[42:43]
	buffer_store_dword v211, off, s[60:63], 0 offset:192 ; 4-byte Folded Spill
	buffer_store_dword v212, off, s[60:63], 0 offset:196 ; 4-byte Folded Spill
	;; [unrolled: 10-line block ×3, first 2 shown]
	v_add_f64 v[18:19], v[213:214], v[18:19]
	v_fma_f64 v[213:214], v[112:113], s[24:25], v[211:212]
	v_add_f64 v[16:17], v[213:214], v[16:17]
	v_mul_f64 v[213:214], v[126:127], s[56:57]
	v_fma_f64 v[211:212], v[146:147], s[24:25], -v[213:214]
	v_add_f64 v[18:19], v[211:212], v[18:19]
	v_mul_f64 v[211:212], v[128:129], s[0:1]
	buffer_store_dword v211, off, s[60:63], 0 offset:268 ; 4-byte Folded Spill
	buffer_store_dword v212, off, s[60:63], 0 offset:272 ; 4-byte Folded Spill
	v_fma_f64 v[211:212], v[122:123], s[18:19], v[211:212]
	v_add_f64 v[16:17], v[211:212], v[16:17]
	v_mul_f64 v[211:212], v[130:131], s[0:1]
	buffer_store_dword v211, off, s[60:63], 0 offset:300 ; 4-byte Folded Spill
	buffer_store_dword v212, off, s[60:63], 0 offset:304 ; 4-byte Folded Spill
	v_fma_f64 v[211:212], v[136:137], s[18:19], -v[211:212]
	v_add_f64 v[18:19], v[211:212], v[18:19]
	v_mul_f64 v[211:212], v[132:133], s[34:35]
	buffer_store_dword v211, off, s[60:63], 0 offset:276 ; 4-byte Folded Spill
	buffer_store_dword v212, off, s[60:63], 0 offset:280 ; 4-byte Folded Spill
	v_fma_f64 v[211:212], v[124:125], s[30:31], v[211:212]
	v_add_f64 v[16:17], v[211:212], v[16:17]
	v_mul_f64 v[211:212], v[134:135], s[34:35]
	buffer_store_dword v211, off, s[60:63], 0 offset:308 ; 4-byte Folded Spill
	buffer_store_dword v212, off, s[60:63], 0 offset:312 ; 4-byte Folded Spill
	s_clause 0x1
	s_load_dwordx2 s[6:7], s[4:5], 0x20
	s_load_dwordx2 s[2:3], s[4:5], 0x8
	s_waitcnt lgkmcnt(0)
	s_waitcnt_vscnt null, 0x0
	s_barrier
	buffer_gl0_inv
	v_fma_f64 v[211:212], v[138:139], s[30:31], -v[211:212]
	v_add_f64 v[18:19], v[211:212], v[18:19]
	s_and_saveexec_b32 s4, vcc_lo
	s_cbranch_execz .LBB0_7
; %bb.6:
	v_add_f64 v[40:41], v[12:13], v[40:41]
	v_add_f64 v[42:43], v[14:15], v[42:43]
	v_mul_f64 v[211:212], v[146:147], s[26:27]
	v_add_f64 v[40:41], v[40:41], v[44:45]
	v_add_f64 v[42:43], v[42:43], v[46:47]
	;; [unrolled: 1-line block ×7, first 2 shown]
	s_clause 0x1
	buffer_load_dword v58, off, s[60:63], 0 offset:80
	buffer_load_dword v59, off, s[60:63], 0 offset:84
	v_add_f64 v[40:41], v[40:41], v[60:61]
	v_add_f64 v[42:43], v[42:43], v[62:63]
	v_mul_f64 v[62:63], v[142:143], s[34:35]
	v_mul_f64 v[60:61], v[142:143], s[48:49]
	v_add_f64 v[40:41], v[40:41], v[68:69]
	v_add_f64 v[42:43], v[42:43], v[70:71]
	v_fma_f64 v[68:69], v[140:141], s[30:31], v[62:63]
	v_fma_f64 v[62:63], v[140:141], s[30:31], -v[62:63]
	v_mul_f64 v[70:71], v[140:141], s[18:19]
	v_add_f64 v[40:41], v[40:41], v[72:73]
	v_add_f64 v[42:43], v[42:43], v[74:75]
	s_clause 0x1
	buffer_load_dword v72, off, s[60:63], 0 offset:64
	buffer_load_dword v73, off, s[60:63], 0 offset:68
	v_add_f64 v[40:41], v[40:41], v[76:77]
	v_add_f64 v[42:43], v[42:43], v[78:79]
	;; [unrolled: 1-line block ×6, first 2 shown]
	v_mul_f64 v[86:87], v[112:113], s[30:31]
	v_add_f64 v[40:41], v[40:41], v[64:65]
	v_add_f64 v[42:43], v[42:43], v[66:67]
	v_fma_f64 v[66:67], v[140:141], s[38:39], v[60:61]
	v_fma_f64 v[60:61], v[140:141], s[38:39], -v[60:61]
	v_add_f64 v[40:41], v[40:41], v[48:49]
	v_add_f64 v[42:43], v[42:43], v[50:51]
	;; [unrolled: 1-line block ×8, first 2 shown]
	v_mul_f64 v[32:33], v[165:166], s[38:39]
	v_add_f64 v[30:31], v[34:35], v[30:31]
	v_add_f64 v[24:25], v[28:29], v[24:25]
	v_fma_f64 v[34:35], v[167:168], s[40:41], v[32:33]
	v_fma_f64 v[36:37], v[167:168], s[48:49], v[32:33]
	v_mul_f64 v[32:33], v[165:166], s[30:31]
	v_mul_f64 v[28:29], v[165:166], s[36:37]
	v_add_f64 v[26:27], v[30:31], v[26:27]
	v_add_f64 v[34:35], v[14:15], v[34:35]
	;; [unrolled: 1-line block ×3, first 2 shown]
	v_fma_f64 v[38:39], v[167:168], s[58:59], v[32:33]
	v_fma_f64 v[40:41], v[167:168], s[34:35], v[32:33]
	v_mul_f64 v[32:33], v[165:166], s[26:27]
	v_fma_f64 v[30:31], v[167:168], s[50:51], v[28:29]
	v_fma_f64 v[28:29], v[167:168], s[42:43], v[28:29]
	v_mul_f64 v[167:168], v[124:125], s[36:37]
	v_add_f64 v[42:43], v[209:210], v[32:33]
	v_mul_f64 v[32:33], v[140:141], s[26:27]
	v_add_f64 v[74:75], v[14:15], v[28:29]
	v_add_f64 v[28:29], v[12:13], v[68:69]
	v_mul_f64 v[209:210], v[106:107], s[38:39]
	v_add_f64 v[167:168], v[167:168], -v[219:220]
	v_mul_f64 v[219:220], v[122:123], s[20:21]
	v_add_f64 v[42:43], v[14:15], v[42:43]
	v_add_f64 v[44:45], v[32:33], -v[207:208]
	v_mul_f64 v[32:33], v[165:166], s[24:25]
	v_mul_f64 v[207:208], v[144:145], s[38:39]
	v_add_f64 v[209:210], v[209:210], -v[233:234]
	v_add_f64 v[219:220], v[219:220], -v[239:240]
	v_add_f64 v[44:45], v[12:13], v[44:45]
	v_add_f64 v[46:47], v[205:206], v[32:33]
	v_mul_f64 v[32:33], v[140:141], s[24:25]
	v_mul_f64 v[205:206], v[100:101], s[36:37]
	v_add_f64 v[207:208], v[243:244], v[207:208]
	v_add_f64 v[46:47], v[14:15], v[46:47]
	v_add_f64 v[48:49], v[32:33], -v[203:204]
	v_mul_f64 v[32:33], v[165:166], s[20:21]
	v_add_f64 v[205:206], v[205:206], -v[229:230]
	v_mul_f64 v[203:204], v[120:121], s[36:37]
	s_waitcnt vmcnt(0)
	v_add_f64 v[70:71], v[70:71], -v[72:73]
	v_add_f64 v[72:73], v[14:15], v[30:31]
	v_add_f64 v[30:31], v[14:15], v[38:39]
	;; [unrolled: 1-line block ×4, first 2 shown]
	s_clause 0x1
	buffer_load_dword v62, off, s[60:63], 0 offset:24
	buffer_load_dword v63, off, s[60:63], 0 offset:28
	v_add_f64 v[48:49], v[12:13], v[48:49]
	v_add_f64 v[50:51], v[201:202], v[32:33]
	v_mul_f64 v[32:33], v[140:141], s[20:21]
	v_mul_f64 v[201:202], v[92:93], s[30:31]
	v_add_f64 v[203:204], v[241:242], v[203:204]
	v_add_f64 v[50:51], v[14:15], v[50:51]
	v_add_f64 v[52:53], v[32:33], -v[199:200]
	v_mul_f64 v[32:33], v[165:166], s[16:17]
	v_add_f64 v[201:202], v[201:202], -v[225:226]
	v_mul_f64 v[225:226], v[144:145], s[16:17]
	v_mul_f64 v[199:200], v[110:111], s[30:31]
	v_add_f64 v[52:53], v[12:13], v[52:53]
	v_add_f64 v[54:55], v[197:198], v[32:33]
	v_mul_f64 v[32:33], v[140:141], s[16:17]
	v_mul_f64 v[197:198], v[88:89], s[24:25]
	v_add_f64 v[187:188], v[187:188], v[225:226]
	v_mul_f64 v[225:226], v[92:93], s[36:37]
	v_add_f64 v[199:200], v[235:236], v[199:200]
	v_add_f64 v[54:55], v[14:15], v[54:55]
	v_add_f64 v[56:57], v[32:33], -v[195:196]
	v_mul_f64 v[32:33], v[165:166], s[18:19]
	v_mul_f64 v[165:166], v[138:139], s[36:37]
	;; [unrolled: 1-line block ×3, first 2 shown]
	v_add_f64 v[197:198], v[197:198], -v[223:224]
	v_mul_f64 v[223:224], v[102:103], s[30:31]
	v_add_f64 v[225:226], v[225:226], -v[253:254]
	v_add_f64 v[56:57], v[12:13], v[56:57]
	v_add_f64 v[58:59], v[58:59], v[32:33]
	;; [unrolled: 1-line block ×3, first 2 shown]
	v_mul_f64 v[227:228], v[100:101], s[26:27]
	v_mul_f64 v[32:33], v[142:143], s[42:43]
	v_add_f64 v[195:196], v[231:232], v[195:196]
	v_add_f64 v[154:155], v[154:155], v[223:224]
	v_mul_f64 v[223:224], v[110:111], s[36:37]
	v_mul_f64 v[142:143], v[122:123], s[38:39]
	v_add_f64 v[56:57], v[197:198], v[56:57]
	v_add_f64 v[14:15], v[14:15], v[58:59]
	v_mul_f64 v[58:59], v[102:103], s[16:17]
	v_add_f64 v[152:153], v[227:228], -v[152:153]
	v_mul_f64 v[227:228], v[106:107], s[16:17]
	v_fma_f64 v[64:65], v[140:141], s[36:37], v[32:33]
	v_fma_f64 v[32:33], v[140:141], s[36:37], -v[32:33]
	v_add_f64 v[169:170], v[169:170], v[223:224]
	v_mul_f64 v[223:224], v[120:121], s[26:27]
	v_add_f64 v[142:143], v[142:143], -v[215:216]
	v_add_f64 v[50:51], v[154:155], v[50:51]
	v_add_f64 v[54:55], v[195:196], v[54:55]
	v_mul_f64 v[215:216], v[112:113], s[26:27]
	v_add_f64 v[56:57], v[201:202], v[56:57]
	v_add_f64 v[161:162], v[227:228], -v[161:162]
	v_mul_f64 v[227:228], v[146:147], s[18:19]
	v_add_f64 v[76:77], v[12:13], v[32:33]
	v_add_f64 v[32:33], v[12:13], v[66:67]
	s_clause 0x3
	buffer_load_dword v66, off, s[60:63], 0 offset:8
	buffer_load_dword v67, off, s[60:63], 0 offset:12
	;; [unrolled: 1-line block ×4, first 2 shown]
	v_add_f64 v[64:65], v[12:13], v[64:65]
	v_add_f64 v[12:13], v[12:13], v[70:71]
	s_clause 0xb
	buffer_load_dword v70, off, s[60:63], 0 offset:16
	buffer_load_dword v71, off, s[60:63], 0 offset:20
	;; [unrolled: 1-line block ×12, first 2 shown]
	v_add_f64 v[175:176], v[175:176], v[223:224]
	v_mul_f64 v[223:224], v[88:89], s[30:31]
	v_add_f64 v[54:55], v[199:200], v[54:55]
	v_add_f64 v[50:51], v[169:170], v[50:51]
	;; [unrolled: 1-line block ×3, first 2 shown]
	v_add_f64 v[215:216], v[215:216], -v[237:238]
	v_add_f64 v[183:184], v[183:184], v[227:228]
	v_mul_f64 v[227:228], v[112:113], s[18:19]
	v_add_f64 v[223:224], v[223:224], -v[249:250]
	v_add_f64 v[54:55], v[203:204], v[54:55]
	v_add_f64 v[50:51], v[175:176], v[50:51]
	v_add_f64 v[56:57], v[209:210], v[56:57]
	v_add_f64 v[163:164], v[227:228], -v[163:164]
	v_mul_f64 v[227:228], v[136:137], s[24:25]
	v_add_f64 v[52:53], v[223:224], v[52:53]
	v_add_f64 v[54:55], v[207:208], v[54:55]
	;; [unrolled: 1-line block ×5, first 2 shown]
	v_mul_f64 v[227:228], v[122:123], s[24:25]
	v_add_f64 v[52:53], v[225:226], v[52:53]
	v_add_f64 v[54:55], v[211:212], v[54:55]
	;; [unrolled: 1-line block ×4, first 2 shown]
	v_add_f64 v[159:160], v[227:228], -v[159:160]
	v_mul_f64 v[227:228], v[138:139], s[38:39]
	v_add_f64 v[52:53], v[152:153], v[52:53]
	v_add_f64 v[50:51], v[177:178], v[50:51]
	;; [unrolled: 1-line block ×3, first 2 shown]
	v_mul_f64 v[227:228], v[124:125], s[38:39]
	v_add_f64 v[52:53], v[161:162], v[52:53]
	v_add_f64 v[157:158], v[227:228], -v[157:158]
	v_mul_f64 v[227:228], v[144:145], s[20:21]
	v_add_f64 v[52:53], v[163:164], v[52:53]
	v_add_f64 v[193:194], v[193:194], v[227:228]
	v_mul_f64 v[227:228], v[102:103], s[36:37]
	s_waitcnt vmcnt(16)
	v_add_f64 v[58:59], v[62:63], v[58:59]
	v_mul_f64 v[62:63], v[88:89], s[16:17]
	v_add_f64 v[52:53], v[159:160], v[52:53]
	v_add_f64 v[185:186], v[185:186], v[227:228]
	v_mul_f64 v[227:228], v[110:111], s[26:27]
	v_add_f64 v[14:15], v[58:59], v[14:15]
	v_mul_f64 v[58:59], v[110:111], s[38:39]
	v_add_f64 v[46:47], v[185:186], v[46:47]
	v_add_f64 v[189:190], v[189:190], v[227:228]
	v_mul_f64 v[227:228], v[120:121], s[18:19]
	v_add_f64 v[46:47], v[189:190], v[46:47]
	;; [unrolled: 3-line block ×3, first 2 shown]
	v_add_f64 v[148:149], v[227:228], -v[148:149]
	v_mul_f64 v[227:228], v[92:93], s[26:27]
	v_add_f64 v[48:49], v[148:149], v[48:49]
	v_add_f64 v[171:172], v[227:228], -v[171:172]
	v_mul_f64 v[227:228], v[100:101], s[18:19]
	v_add_f64 v[48:49], v[171:172], v[48:49]
	;; [unrolled: 3-line block ×3, first 2 shown]
	v_add_f64 v[179:180], v[227:228], -v[179:180]
	v_mul_f64 v[227:228], v[102:103], s[18:19]
	s_waitcnt vmcnt(14)
	v_add_f64 v[62:63], v[62:63], -v[66:67]
	v_mul_f64 v[66:67], v[110:111], s[20:21]
	s_waitcnt vmcnt(0)
	v_add_f64 v[86:87], v[86:87], -v[140:141]
	v_mul_f64 v[140:141], v[136:137], s[38:39]
	v_add_f64 v[48:49], v[179:180], v[48:49]
	v_fma_f64 v[229:230], v[90:91], s[0:1], v[227:228]
	v_fma_f64 v[227:228], v[90:91], s[52:53], v[227:228]
	v_add_f64 v[12:13], v[62:63], v[12:13]
	v_fma_f64 v[62:63], v[98:99], s[40:41], v[58:59]
	v_fma_f64 v[58:59], v[98:99], s[48:49], v[58:59]
	v_add_f64 v[66:67], v[68:69], v[66:67]
	v_mul_f64 v[68:69], v[92:93], s[20:21]
	v_add_f64 v[140:141], v[221:222], v[140:141]
	v_mul_f64 v[221:222], v[138:139], s[18:19]
	;; [unrolled: 2-line block ×3, first 2 shown]
	v_add_f64 v[74:75], v[227:228], v[74:75]
	v_add_f64 v[14:15], v[66:67], v[14:15]
	v_add_f64 v[68:69], v[68:69], -v[70:71]
	v_mul_f64 v[70:71], v[120:121], s[24:25]
	v_mul_f64 v[66:67], v[120:121], s[16:17]
	v_add_f64 v[150:151], v[150:151], v[221:222]
	v_mul_f64 v[221:222], v[124:125], s[18:19]
	v_add_f64 v[62:63], v[62:63], v[72:73]
	v_fma_f64 v[227:228], v[88:89], s[18:19], -v[229:230]
	v_mul_f64 v[72:73], v[96:97], s[48:49]
	v_fma_f64 v[231:232], v[88:89], s[18:19], v[229:230]
	v_add_f64 v[58:59], v[58:59], v[74:75]
	v_mul_f64 v[74:75], v[110:111], s[24:25]
	v_add_f64 v[12:13], v[68:69], v[12:13]
	v_add_f64 v[70:71], v[78:79], v[70:71]
	v_mul_f64 v[78:79], v[100:101], s[24:25]
	v_fma_f64 v[68:69], v[104:105], s[10:11], v[66:67]
	v_fma_f64 v[66:67], v[104:105], s[54:55], v[66:67]
	v_add_f64 v[221:222], v[221:222], -v[247:248]
	v_add_f64 v[76:77], v[227:228], v[76:77]
	v_mul_f64 v[227:228], v[102:103], s[20:21]
	v_fma_f64 v[148:149], v[92:93], s[38:39], v[72:73]
	v_fma_f64 v[72:73], v[92:93], s[38:39], -v[72:73]
	v_add_f64 v[64:65], v[231:232], v[64:65]
	v_add_f64 v[14:15], v[70:71], v[14:15]
	v_add_f64 v[78:79], v[78:79], -v[80:81]
	v_add_f64 v[62:63], v[68:69], v[62:63]
	v_mul_f64 v[68:69], v[108:109], s[54:55]
	v_mul_f64 v[70:71], v[144:145], s[30:31]
	;; [unrolled: 1-line block ×3, first 2 shown]
	v_add_f64 v[58:59], v[66:67], v[58:59]
	v_fma_f64 v[229:230], v[90:91], s[46:47], v[227:228]
	v_add_f64 v[72:73], v[72:73], v[76:77]
	v_fma_f64 v[76:77], v[98:99], s[22:23], v[74:75]
	;; [unrolled: 2-line block ×3, first 2 shown]
	v_add_f64 v[12:13], v[78:79], v[12:13]
	v_fma_f64 v[66:67], v[100:101], s[16:17], -v[68:69]
	v_fma_f64 v[78:79], v[118:119], s[58:59], v[70:71]
	v_add_f64 v[80:81], v[82:83], v[80:81]
	v_mul_f64 v[82:83], v[106:107], s[26:27]
	v_fma_f64 v[70:71], v[118:119], s[34:35], v[70:71]
	v_add_f64 v[36:37], v[229:230], v[36:37]
	v_mul_f64 v[229:230], v[94:95], s[46:47]
	v_mul_f64 v[94:95], v[94:95], s[44:45]
	v_add_f64 v[66:67], v[66:67], v[72:73]
	v_add_f64 v[62:63], v[78:79], v[62:63]
	v_mul_f64 v[78:79], v[114:115], s[34:35]
	v_add_f64 v[82:83], v[82:83], -v[84:85]
	v_add_f64 v[58:59], v[70:71], v[58:59]
	v_add_f64 v[14:15], v[80:81], v[14:15]
	v_mul_f64 v[80:81], v[146:147], s[20:21]
	v_mul_f64 v[84:85], v[146:147], s[30:31]
	v_add_f64 v[36:37], v[76:77], v[36:37]
	v_fma_f64 v[231:232], v[88:89], s[20:21], -v[229:230]
	v_mul_f64 v[76:77], v[96:97], s[22:23]
	v_mul_f64 v[96:97], v[96:97], s[0:1]
	v_fma_f64 v[70:71], v[106:107], s[30:31], -v[78:79]
	v_add_f64 v[12:13], v[82:83], v[12:13]
	v_fma_f64 v[82:83], v[126:127], s[8:9], v[80:81]
	v_add_f64 v[84:85], v[217:218], v[84:85]
	v_fma_f64 v[80:81], v[126:127], s[46:47], v[80:81]
	v_mul_f64 v[217:218], v[136:137], s[20:21]
	v_add_f64 v[60:61], v[231:232], v[60:61]
	v_fma_f64 v[148:149], v[92:93], s[24:25], -v[76:77]
	v_add_f64 v[66:67], v[70:71], v[66:67]
	v_mul_f64 v[70:71], v[144:145], s[18:19]
	v_add_f64 v[12:13], v[86:87], v[12:13]
	v_add_f64 v[62:63], v[82:83], v[62:63]
	v_mul_f64 v[82:83], v[116:117], s[46:47]
	v_add_f64 v[58:59], v[80:81], v[58:59]
	;; [unrolled: 3-line block ×3, first 2 shown]
	v_add_f64 v[60:61], v[148:149], v[60:61]
	v_fma_f64 v[148:149], v[100:101], s[16:17], v[68:69]
	v_mul_f64 v[68:69], v[120:121], s[30:31]
	v_add_f64 v[142:143], v[142:143], v[12:13]
	v_mul_f64 v[12:13], v[146:147], s[38:39]
	v_fma_f64 v[80:81], v[112:113], s[20:21], -v[82:83]
	v_add_f64 v[140:141], v[140:141], v[14:15]
	v_fma_f64 v[86:87], v[130:131], s[44:45], v[84:85]
	v_fma_f64 v[84:85], v[130:131], s[28:29], v[84:85]
	s_clause 0x1
	buffer_load_dword v14, off, s[60:63], 0 offset:208
	buffer_load_dword v15, off, s[60:63], 0 offset:212
	v_add_f64 v[54:55], v[217:218], v[54:55]
	v_add_f64 v[64:65], v[148:149], v[64:65]
	v_fma_f64 v[72:73], v[104:105], s[58:59], v[68:69]
	v_fma_f64 v[68:69], v[104:105], s[34:35], v[68:69]
	v_add_f64 v[66:67], v[80:81], v[66:67]
	v_mul_f64 v[80:81], v[146:147], s[36:37]
	v_add_f64 v[62:63], v[86:87], v[62:63]
	v_mul_f64 v[86:87], v[128:129], s[28:29]
	v_add_f64 v[58:59], v[84:85], v[58:59]
	v_add_f64 v[36:37], v[72:73], v[36:37]
	v_mul_f64 v[72:73], v[108:109], s[58:59]
	v_mul_f64 v[108:109], v[108:109], s[48:49]
	v_fma_f64 v[84:85], v[122:123], s[26:27], -v[86:87]
	v_fma_f64 v[148:149], v[100:101], s[30:31], -v[72:73]
	v_add_f64 v[66:67], v[84:85], v[66:67]
	v_mul_f64 v[84:85], v[136:137], s[16:17]
	v_add_f64 v[60:61], v[148:149], v[60:61]
	v_fma_f64 v[148:149], v[106:107], s[30:31], v[78:79]
	v_fma_f64 v[78:79], v[118:119], s[0:1], v[70:71]
	v_add_f64 v[64:65], v[148:149], v[64:65]
	v_add_f64 v[36:37], v[78:79], v[36:37]
	v_mul_f64 v[78:79], v[114:115], s[0:1]
	v_mul_f64 v[114:115], v[114:115], s[56:57]
	v_fma_f64 v[148:149], v[106:107], s[18:19], -v[78:79]
	v_add_f64 v[60:61], v[148:149], v[60:61]
	v_fma_f64 v[148:149], v[112:113], s[20:21], v[82:83]
	v_fma_f64 v[82:83], v[126:127], s[42:43], v[80:81]
	v_add_f64 v[64:65], v[148:149], v[64:65]
	v_add_f64 v[36:37], v[82:83], v[36:37]
	v_mul_f64 v[82:83], v[116:117], s[42:43]
	v_fma_f64 v[148:149], v[112:113], s[36:37], -v[82:83]
	v_add_f64 v[60:61], v[148:149], v[60:61]
	v_fma_f64 v[148:149], v[122:123], s[26:27], v[86:87]
	v_fma_f64 v[86:87], v[130:131], s[54:55], v[84:85]
	v_add_f64 v[64:65], v[148:149], v[64:65]
	v_add_f64 v[36:37], v[86:87], v[36:37]
	v_mul_f64 v[86:87], v[128:129], s[54:55]
	v_fma_f64 v[148:149], v[122:123], s[16:17], -v[86:87]
	v_fma_f64 v[86:87], v[122:123], s[16:17], v[86:87]
	v_add_f64 v[60:61], v[148:149], v[60:61]
	s_clause 0x3
	buffer_load_dword v148, off, s[60:63], 0 offset:128
	buffer_load_dword v149, off, s[60:63], 0 offset:132
	;; [unrolled: 1-line block ×4, first 2 shown]
	s_waitcnt vmcnt(4)
	v_add_f64 v[12:13], v[14:15], v[12:13]
	v_add_f64 v[14:15], v[193:194], v[46:47]
	v_mul_f64 v[46:47], v[112:113], s[38:39]
	v_add_f64 v[12:13], v[12:13], v[14:15]
	v_mul_f64 v[14:15], v[122:123], s[30:31]
	s_waitcnt vmcnt(2)
	v_add_f64 v[46:47], v[46:47], -v[148:149]
	v_mul_f64 v[148:149], v[136:137], s[30:31]
	v_add_f64 v[46:47], v[46:47], v[48:49]
	s_waitcnt vmcnt(0)
	v_add_f64 v[148:149], v[152:153], v[148:149]
	s_clause 0x1
	buffer_load_dword v152, off, s[60:63], 0 offset:144
	buffer_load_dword v153, off, s[60:63], 0 offset:148
	v_mul_f64 v[48:49], v[138:139], s[16:17]
	v_add_f64 v[148:149], v[148:149], v[12:13]
	v_mul_f64 v[12:13], v[124:125], s[16:17]
	s_waitcnt vmcnt(0)
	v_add_f64 v[14:15], v[14:15], -v[152:153]
	s_clause 0x1
	buffer_load_dword v152, off, s[60:63], 0 offset:244
	buffer_load_dword v153, off, s[60:63], 0 offset:248
	v_add_f64 v[154:155], v[14:15], v[46:47]
	s_waitcnt vmcnt(0)
	v_add_f64 v[48:49], v[152:153], v[48:49]
	s_clause 0x5
	buffer_load_dword v152, off, s[60:63], 0 offset:160
	buffer_load_dword v153, off, s[60:63], 0 offset:164
	buffer_load_dword v14, off, s[60:63], 0 offset:284
	buffer_load_dword v15, off, s[60:63], 0 offset:288
	buffer_load_dword v46, off, s[60:63], 0 offset:292
	buffer_load_dword v47, off, s[60:63], 0 offset:296
	s_waitcnt vmcnt(4)
	v_add_f64 v[152:153], v[12:13], -v[152:153]
	v_mul_f64 v[12:13], v[102:103], s[38:39]
	s_waitcnt vmcnt(2)
	v_add_f64 v[12:13], v[14:15], v[12:13]
	v_mul_f64 v[14:15], v[110:111], s[16:17]
	v_add_f64 v[12:13], v[12:13], v[42:43]
	s_waitcnt vmcnt(0)
	v_add_f64 v[14:15], v[46:47], v[14:15]
	s_clause 0x1
	buffer_load_dword v46, off, s[60:63], 0 offset:316
	buffer_load_dword v47, off, s[60:63], 0 offset:320
	v_mul_f64 v[42:43], v[120:121], s[20:21]
	v_add_f64 v[12:13], v[14:15], v[12:13]
	v_mul_f64 v[14:15], v[144:145], s[36:37]
	s_waitcnt vmcnt(0)
	v_add_f64 v[42:43], v[46:47], v[42:43]
	s_clause 0x1
	buffer_load_dword v46, off, s[60:63], 0 offset:324
	buffer_load_dword v47, off, s[60:63], 0 offset:328
	v_add_f64 v[12:13], v[42:43], v[12:13]
	v_mul_f64 v[42:43], v[146:147], s[24:25]
	v_add_f64 v[42:43], v[213:214], v[42:43]
	s_waitcnt vmcnt(0)
	v_add_f64 v[14:15], v[46:47], v[14:15]
	s_clause 0x3
	buffer_load_dword v46, off, s[60:63], 0 offset:96
	buffer_load_dword v47, off, s[60:63], 0 offset:100
	;; [unrolled: 1-line block ×4, first 2 shown]
	v_add_f64 v[12:13], v[14:15], v[12:13]
	v_mul_f64 v[14:15], v[88:89], s[38:39]
	v_add_f64 v[12:13], v[42:43], v[12:13]
	v_mul_f64 v[42:43], v[122:123], s[18:19]
	s_waitcnt vmcnt(2)
	v_add_f64 v[14:15], v[14:15], -v[46:47]
	v_mul_f64 v[46:47], v[92:93], s[16:17]
	v_add_f64 v[14:15], v[14:15], v[44:45]
	s_waitcnt vmcnt(0)
	v_add_f64 v[46:47], v[46:47], -v[159:160]
	s_clause 0x1
	buffer_load_dword v159, off, s[60:63], 0 offset:176
	buffer_load_dword v160, off, s[60:63], 0 offset:180
	v_mul_f64 v[44:45], v[100:101], s[20:21]
	v_add_f64 v[14:15], v[46:47], v[14:15]
	v_mul_f64 v[46:47], v[106:107], s[36:37]
	s_waitcnt vmcnt(0)
	v_add_f64 v[44:45], v[44:45], -v[159:160]
	s_clause 0x1
	buffer_load_dword v159, off, s[60:63], 0 offset:192
	buffer_load_dword v160, off, s[60:63], 0 offset:196
	v_add_f64 v[14:15], v[44:45], v[14:15]
	v_mul_f64 v[44:45], v[112:113], s[24:25]
	s_waitcnt vmcnt(0)
	v_add_f64 v[46:47], v[46:47], -v[159:160]
	s_clause 0x1
	buffer_load_dword v159, off, s[60:63], 0 offset:260
	buffer_load_dword v160, off, s[60:63], 0 offset:264
	;; [unrolled: 7-line block ×3, first 2 shown]
	v_add_f64 v[14:15], v[44:45], v[14:15]
	v_mul_f64 v[44:45], v[138:139], s[30:31]
	s_waitcnt vmcnt(0)
	v_add_f64 v[46:47], v[159:160], v[46:47]
	s_clause 0x1
	buffer_load_dword v159, off, s[60:63], 0 offset:268
	buffer_load_dword v160, off, s[60:63], 0 offset:272
	v_add_f64 v[161:162], v[46:47], v[12:13]
	v_mul_f64 v[12:13], v[124:125], s[30:31]
	s_waitcnt vmcnt(0)
	v_add_f64 v[42:43], v[42:43], -v[159:160]
	s_clause 0x1
	buffer_load_dword v159, off, s[60:63], 0 offset:308
	buffer_load_dword v160, off, s[60:63], 0 offset:312
	s_waitcnt vmcnt(0)
	v_add_f64 v[159:160], v[159:160], v[44:45]
	s_clause 0x1
	buffer_load_dword v44, off, s[60:63], 0 offset:276
	buffer_load_dword v45, off, s[60:63], 0 offset:280
	s_waitcnt vmcnt(0)
	v_add_f64 v[163:164], v[12:13], -v[44:45]
	v_mul_f64 v[12:13], v[102:103], s[26:27]
	v_fma_f64 v[44:45], v[90:91], s[44:45], v[12:13]
	v_fma_f64 v[12:13], v[90:91], s[28:29], v[12:13]
	v_add_f64 v[38:39], v[44:45], v[38:39]
	v_mul_f64 v[44:45], v[110:111], s[18:19]
	v_add_f64 v[12:13], v[12:13], v[30:31]
	v_fma_f64 v[30:31], v[100:101], s[30:31], v[72:73]
	v_mul_f64 v[72:73], v[136:137], s[36:37]
	v_fma_f64 v[46:47], v[98:99], s[0:1], v[44:45]
	v_fma_f64 v[44:45], v[98:99], s[52:53], v[44:45]
	v_add_f64 v[38:39], v[46:47], v[38:39]
	v_mul_f64 v[46:47], v[120:121], s[38:39]
	v_add_f64 v[12:13], v[44:45], v[12:13]
	v_fma_f64 v[44:45], v[118:119], s[52:53], v[70:71]
	v_fma_f64 v[70:71], v[112:113], s[36:37], v[82:83]
	v_mul_f64 v[82:83], v[138:139], s[20:21]
	v_fma_f64 v[102:103], v[104:105], s[48:49], v[46:47]
	v_fma_f64 v[46:47], v[104:105], s[40:41], v[46:47]
	v_add_f64 v[38:39], v[102:103], v[38:39]
	v_mul_f64 v[102:103], v[144:145], s[24:25]
	v_add_f64 v[12:13], v[46:47], v[12:13]
	v_fma_f64 v[46:47], v[106:107], s[18:19], v[78:79]
	v_fma_f64 v[78:79], v[130:131], s[10:11], v[84:85]
	v_mul_f64 v[84:85], v[132:133], s[46:47]
	v_fma_f64 v[110:111], v[118:119], s[56:57], v[102:103]
	v_add_f64 v[38:39], v[110:111], v[38:39]
	v_mul_f64 v[110:111], v[146:147], s[16:17]
	v_fma_f64 v[120:121], v[126:127], s[10:11], v[110:111]
	v_add_f64 v[38:39], v[120:121], v[38:39]
	v_fma_f64 v[120:121], v[88:89], s[26:27], -v[94:95]
	v_add_f64 v[40:41], v[120:121], v[40:41]
	v_fma_f64 v[120:121], v[92:93], s[18:19], -v[96:97]
	;; [unrolled: 2-line block ×4, first 2 shown]
	v_add_f64 v[40:41], v[120:121], v[40:41]
	v_fma_f64 v[120:121], v[90:91], s[8:9], v[227:228]
	v_add_f64 v[90:91], v[42:43], v[14:15]
	v_add_f64 v[34:35], v[120:121], v[34:35]
	v_fma_f64 v[120:121], v[88:89], s[20:21], v[229:230]
	v_add_f64 v[34:35], v[74:75], v[34:35]
	v_add_f64 v[32:33], v[120:121], v[32:33]
	v_fma_f64 v[74:75], v[92:93], s[24:25], v[76:77]
	v_mul_f64 v[76:77], v[128:129], s[42:43]
	v_add_f64 v[34:35], v[68:69], v[34:35]
	v_fma_f64 v[68:69], v[88:89], s[26:27], v[94:95]
	v_add_f64 v[32:33], v[74:75], v[32:33]
	v_mul_f64 v[74:75], v[138:139], s[24:25]
	v_add_f64 v[34:35], v[44:45], v[34:35]
	v_add_f64 v[28:29], v[68:69], v[28:29]
	;; [unrolled: 1-line block ×3, first 2 shown]
	v_fma_f64 v[32:33], v[92:93], s[18:19], v[96:97]
	v_fma_f64 v[44:45], v[118:119], s[22:23], v[102:103]
	;; [unrolled: 1-line block ×3, first 2 shown]
	v_fma_f64 v[92:93], v[124:125], s[20:21], -v[84:85]
	v_fma_f64 v[84:85], v[124:125], s[20:21], v[84:85]
	v_add_f64 v[30:31], v[46:47], v[30:31]
	v_add_f64 v[28:29], v[32:33], v[28:29]
	v_fma_f64 v[32:33], v[100:101], s[38:39], v[108:109]
	v_add_f64 v[12:13], v[44:45], v[12:13]
	v_mul_f64 v[44:45], v[116:117], s[10:11]
	v_fma_f64 v[46:47], v[126:127], s[50:51], v[80:81]
	v_fma_f64 v[80:81], v[134:135], s[22:23], v[74:75]
	;; [unrolled: 1-line block ×3, first 2 shown]
	v_add_f64 v[30:31], v[70:71], v[30:31]
	v_fma_f64 v[70:71], v[130:131], s[42:43], v[72:73]
	v_add_f64 v[28:29], v[32:33], v[28:29]
	v_fma_f64 v[32:33], v[106:107], s[24:25], v[114:115]
	v_add_f64 v[12:13], v[68:69], v[12:13]
	v_mul_f64 v[68:69], v[132:133], s[28:29]
	v_add_f64 v[14:15], v[80:81], v[62:63]
	v_add_f64 v[34:35], v[46:47], v[34:35]
	v_mul_f64 v[46:47], v[138:139], s[26:27]
	v_fma_f64 v[72:73], v[130:131], s[50:51], v[72:73]
	v_fma_f64 v[80:81], v[134:135], s[46:47], v[82:83]
	;; [unrolled: 1-line block ×3, first 2 shown]
	v_add_f64 v[86:87], v[86:87], v[30:31]
	v_add_f64 v[70:71], v[70:71], v[38:39]
	;; [unrolled: 1-line block ×4, first 2 shown]
	v_fma_f64 v[32:33], v[112:113], s[16:17], -v[44:45]
	v_fma_f64 v[44:45], v[112:113], s[16:17], v[44:45]
	v_fma_f64 v[38:39], v[124:125], s[26:27], -v[68:69]
	v_add_f64 v[78:79], v[78:79], v[34:35]
	v_fma_f64 v[42:43], v[134:135], s[28:29], v[46:47]
	v_fma_f64 v[94:95], v[134:135], s[44:45], v[46:47]
	;; [unrolled: 1-line block ×3, first 2 shown]
	v_add_f64 v[72:73], v[72:73], v[12:13]
	v_add_f64 v[46:47], v[181:182], v[50:51]
	v_add_f64 v[50:51], v[48:49], v[148:149]
	v_add_f64 v[48:49], v[152:153], v[154:155]
	v_add_f64 v[58:59], v[80:81], v[70:71]
	v_add_f64 v[32:33], v[32:33], v[40:41]
	v_add_f64 v[28:29], v[44:45], v[28:29]
	v_fma_f64 v[44:45], v[122:123], s[36:37], -v[76:77]
	v_mul_f64 v[40:41], v[132:133], s[56:57]
	v_fma_f64 v[76:77], v[122:123], s[36:37], v[76:77]
	v_add_f64 v[34:35], v[42:43], v[36:37]
	v_add_f64 v[36:37], v[167:168], v[142:143]
	;; [unrolled: 1-line block ×6, first 2 shown]
	buffer_load_dword v60, off, s[60:63], 0 ; 4-byte Folded Reload
	v_fma_f64 v[88:89], v[124:125], s[24:25], v[40:41]
	v_fma_f64 v[40:41], v[124:125], s[24:25], -v[40:41]
	v_add_f64 v[76:77], v[76:77], v[28:29]
	v_add_f64 v[38:39], v[165:166], v[140:141]
	;; [unrolled: 1-line block ×11, first 2 shown]
	s_waitcnt vmcnt(0)
	v_mul_lo_u16 v70, v60, 17
	v_add_f64 v[60:61], v[68:69], v[86:87]
	v_and_b32_e32 v68, 0xffff, v70
	v_add_lshl_u32 v68, v255, v68, 4
	ds_write_b128 v68, v[24:27]
	ds_write_b128 v68, v[36:39] offset:16
	ds_write_b128 v68, v[40:43] offset:32
	;; [unrolled: 1-line block ×16, first 2 shown]
.LBB0_7:
	s_or_b32 exec_lo, exec_lo, s4
	buffer_load_dword v12, off, s[60:63], 0 ; 4-byte Folded Reload
	s_waitcnt vmcnt(0) lgkmcnt(0)
	s_barrier
	buffer_gl0_inv
	v_add_lshl_u32 v235, v255, v12, 4
	v_cmp_gt_u16_e64 s0, 17, v12
	ds_read_b128 v[24:27], v235
	ds_read_b128 v[28:31], v235 offset:544
	ds_read_b128 v[52:55], v235 offset:3536
	ds_read_b128 v[48:51], v235 offset:4080
	ds_read_b128 v[32:35], v235 offset:1088
	ds_read_b128 v[36:39], v235 offset:1632
	ds_read_b128 v[84:87], v235 offset:4624
	ds_read_b128 v[56:59], v235 offset:5168
	ds_read_b128 v[40:43], v235 offset:2176
	ds_read_b128 v[44:47], v235 offset:2720
	ds_read_b128 v[92:95], v235 offset:5712
	ds_read_b128 v[88:91], v235 offset:6256
	s_and_saveexec_b32 s1, s0
	s_cbranch_execz .LBB0_9
; %bb.8:
	ds_read_b128 v[16:19], v235 offset:3264
	ds_read_b128 v[20:23], v235 offset:6800
.LBB0_9:
	s_or_b32 exec_lo, exec_lo, s1
	buffer_load_dword v131, off, s[60:63], 0 ; 4-byte Folded Reload
	v_mov_b32_e32 v68, 4
	s_waitcnt vmcnt(0)
	v_add_nc_u16 v14, v131, 34
	v_add_co_u32 v12, s1, 0xffffffef, v131
	v_add_co_ci_u32_e64 v13, null, 0, -1, s1
	v_and_b32_e32 v15, 0xff, v14
	v_add_nc_u16 v69, v131, 0x44
	v_add_nc_u16 v70, v131, 0x66
	v_cndmask_b32_e64 v97, v13, 0, s0
	v_cndmask_b32_e64 v96, v12, v131, s0
	v_mul_lo_u16 v15, 0xf1, v15
	v_add_nc_u16 v71, v131, 0x88
	v_add_nc_u16 v72, v131, 0xaa
	v_and_b32_e32 v60, 0xff, v69
	v_lshlrev_b64 v[12:13], 4, v[96:97]
	v_lshrrev_b16 v121, 12, v15
	v_and_b32_e32 v15, 0xff, v70
	v_and_b32_e32 v61, 0xff, v71
	;; [unrolled: 1-line block ×3, first 2 shown]
	v_mul_lo_u16 v60, 0xf1, v60
	v_mul_lo_u16 v63, v121, 17
	;; [unrolled: 1-line block ×4, first 2 shown]
	v_add_co_u32 v12, s1, s2, v12
	v_sub_nc_u16 v122, v14, v63
	v_mul_lo_u16 v73, 0xf1, v62
	v_add_co_ci_u32_e64 v13, s1, s3, v13, s1
	v_lshrrev_b16 v123, 12, v60
	v_lshlrev_b32_sdwa v14, v68, v122 dst_sel:DWORD dst_unused:UNUSED_PAD src0_sel:DWORD src1_sel:BYTE_0
	v_lshrrev_b16 v124, 12, v15
	v_lshrrev_b16 v125, 12, v61
	;; [unrolled: 1-line block ×3, first 2 shown]
	s_clause 0x1
	global_load_dwordx4 v[64:67], v[12:13], off
	global_load_dwordx4 v[60:63], v14, s[2:3]
	v_mul_lo_u16 v12, v123, 17
	v_mul_lo_u16 v13, v124, 17
	v_add_nc_u16 v15, v131, 0xcc
	v_mul_lo_u16 v14, v125, 17
	v_cmp_lt_u16_e64 s1, 16, v131
	v_sub_nc_u16 v127, v69, v12
	v_mul_lo_u16 v12, v126, 17
	v_sub_nc_u16 v128, v70, v13
	v_and_b32_e32 v13, 0xff, v15
	v_sub_nc_u16 v129, v71, v14
	v_lshlrev_b32_sdwa v14, v68, v127 dst_sel:DWORD dst_unused:UNUSED_PAD src0_sel:DWORD src1_sel:BYTE_0
	v_sub_nc_u16 v130, v72, v12
	v_lshlrev_b32_sdwa v12, v68, v128 dst_sel:DWORD dst_unused:UNUSED_PAD src0_sel:DWORD src1_sel:BYTE_0
	v_mul_lo_u16 v13, 0xf1, v13
	v_lshlrev_b32_sdwa v69, v68, v129 dst_sel:DWORD dst_unused:UNUSED_PAD src0_sel:DWORD src1_sel:BYTE_0
	global_load_dwordx4 v[76:79], v14, s[2:3]
	v_lshlrev_b32_sdwa v14, v68, v130 dst_sel:DWORD dst_unused:UNUSED_PAD src0_sel:DWORD src1_sel:BYTE_0
	s_clause 0x1
	global_load_dwordx4 v[80:83], v12, s[2:3]
	global_load_dwordx4 v[68:71], v69, s[2:3]
	v_lshrrev_b16 v12, 12, v13
	v_cndmask_b32_e64 v131, 0, 34, s1
	global_load_dwordx4 v[72:75], v14, s[2:3]
	s_load_dwordx4 s[4:7], s[6:7], 0x0
	v_mul_lo_u16 v12, v12, 17
	v_sub_nc_u16 v12, v15, v12
	v_and_b32_e32 v12, 0xff, v12
	buffer_store_dword v12, off, s[60:63], 0 offset:8 ; 4-byte Folded Spill
	v_lshlrev_b32_e32 v12, 4, v12
	global_load_dwordx4 v[12:15], v12, s[2:3]
	s_waitcnt vmcnt(0) lgkmcnt(0)
	s_waitcnt_vscnt null, 0x0
	s_barrier
	buffer_gl0_inv
	v_mul_f64 v[97:98], v[54:55], v[66:67]
	v_mul_f64 v[99:100], v[52:53], v[66:67]
	;; [unrolled: 1-line block ×12, first 2 shown]
	v_fma_f64 v[52:53], v[52:53], v[64:65], -v[97:98]
	v_fma_f64 v[54:55], v[54:55], v[64:65], v[99:100]
	v_fma_f64 v[97:98], v[48:49], v[60:61], -v[101:102]
	v_fma_f64 v[99:100], v[50:51], v[60:61], v[103:104]
	v_add_nc_u32_e32 v48, v96, v131
	v_fma_f64 v[84:85], v[84:85], v[76:77], -v[105:106]
	v_fma_f64 v[86:87], v[86:87], v[76:77], v[107:108]
	v_fma_f64 v[101:102], v[56:57], v[80:81], -v[109:110]
	v_fma_f64 v[103:104], v[58:59], v[80:81], v[111:112]
	v_fma_f64 v[92:93], v[92:93], v[68:69], -v[113:114]
	v_fma_f64 v[94:95], v[94:95], v[68:69], v[115:116]
	v_fma_f64 v[88:89], v[88:89], v[72:73], -v[117:118]
	v_fma_f64 v[90:91], v[90:91], v[72:73], v[119:120]
	v_mul_f64 v[105:106], v[22:23], v[14:15]
	v_mul_f64 v[107:108], v[20:21], v[14:15]
	v_add_lshl_u32 v111, v255, v48, 4
	v_add_f64 v[48:49], v[24:25], -v[52:53]
	v_add_f64 v[50:51], v[26:27], -v[54:55]
	;; [unrolled: 1-line block ×4, first 2 shown]
	v_mov_b32_e32 v109, 34
	v_mad_u16 v100, v121, 34, v122
	buffer_store_dword v111, off, s[60:63], 0 offset:16 ; 4-byte Folded Spill
	v_mul_u32_u24_sdwa v110, v123, v109 dst_sel:DWORD dst_unused:UNUSED_PAD src0_sel:WORD_0 src1_sel:DWORD
	v_add_f64 v[56:57], v[32:33], -v[84:85]
	v_add_f64 v[58:59], v[34:35], -v[86:87]
	;; [unrolled: 1-line block ×8, first 2 shown]
	v_fma_f64 v[88:89], v[20:21], v[12:13], -v[105:106]
	v_fma_f64 v[90:91], v[22:23], v[12:13], v[107:108]
	v_mul_u32_u24_sdwa v20, v124, v109 dst_sel:DWORD dst_unused:UNUSED_PAD src0_sel:WORD_0 src1_sel:DWORD
	v_mul_u32_u24_sdwa v21, v125, v109 dst_sel:DWORD dst_unused:UNUSED_PAD src0_sel:WORD_0 src1_sel:DWORD
	;; [unrolled: 1-line block ×3, first 2 shown]
	v_add_nc_u32_sdwa v101, v110, v127 dst_sel:DWORD dst_unused:UNUSED_PAD src0_sel:DWORD src1_sel:BYTE_0
	ds_write_b128 v111, v[48:51] offset:272
	v_add_nc_u32_sdwa v102, v20, v128 dst_sel:DWORD dst_unused:UNUSED_PAD src0_sel:DWORD src1_sel:BYTE_0
	v_add_nc_u32_sdwa v103, v21, v129 dst_sel:DWORD dst_unused:UNUSED_PAD src0_sel:DWORD src1_sel:BYTE_0
	;; [unrolled: 1-line block ×3, first 2 shown]
	v_fma_f64 v[20:21], v[24:25], 2.0, -v[48:49]
	v_fma_f64 v[22:23], v[26:27], 2.0, -v[50:51]
	;; [unrolled: 1-line block ×12, first 2 shown]
	v_add_f64 v[88:89], v[16:17], -v[88:89]
	v_add_f64 v[90:91], v[18:19], -v[90:91]
	v_and_b32_e32 v44, 0xff, v100
	v_add_lshl_u32 v100, v255, v101, 4
	v_add_lshl_u32 v47, v255, v102, 4
	;; [unrolled: 1-line block ×5, first 2 shown]
	ds_write_b128 v111, v[20:23]
	ds_write_b128 v44, v[52:55] offset:272
	buffer_store_dword v44, off, s[60:63], 0 offset:56 ; 4-byte Folded Spill
	ds_write_b128 v44, v[24:27]
	ds_write_b128 v100, v[28:31]
	buffer_store_dword v100, off, s[60:63], 0 offset:48 ; 4-byte Folded Spill
	ds_write_b128 v100, v[56:59] offset:272
	ds_write_b128 v47, v[32:35]
	buffer_store_dword v47, off, s[60:63], 0 offset:40 ; 4-byte Folded Spill
	ds_write_b128 v47, v[84:87] offset:272
	ds_write_b128 v46, v[36:39]
	buffer_store_dword v46, off, s[60:63], 0 offset:32 ; 4-byte Folded Spill
	ds_write_b128 v46, v[92:95] offset:272
	ds_write_b128 v45, v[40:43]
	buffer_store_dword v45, off, s[60:63], 0 offset:24 ; 4-byte Folded Spill
	ds_write_b128 v45, v[96:99] offset:272
	s_and_saveexec_b32 s1, s0
	s_cbranch_execz .LBB0_11
; %bb.10:
	buffer_load_dword v20, off, s[60:63], 0 offset:8 ; 4-byte Folded Reload
	v_fma_f64 v[18:19], v[18:19], 2.0, -v[90:91]
	v_fma_f64 v[16:17], v[16:17], 2.0, -v[88:89]
	s_waitcnt vmcnt(0)
	v_add_lshl_u32 v20, v255, v20, 4
	ds_write_b128 v20, v[16:19] offset:6528
	ds_write_b128 v20, v[88:91] offset:6800
.LBB0_11:
	s_or_b32 exec_lo, exec_lo, s1
	buffer_load_dword v252, off, s[60:63], 0 ; 4-byte Folded Reload
	s_waitcnt vmcnt(0) lgkmcnt(0)
	s_waitcnt_vscnt null, 0x0
	s_barrier
	buffer_gl0_inv
	s_mov_b32 s28, 0x42a4c3d2
	s_mov_b32 s30, 0x66966769
	;; [unrolled: 1-line block ×28, first 2 shown]
	v_mad_u64_u32 v[100:101], null, 0xc0, v252, s[2:3]
	s_mov_b32 s2, 0xebaa3ed8
	s_mov_b32 s3, 0x3fbedb7d
	s_clause 0x7
	global_load_dwordx4 v[56:59], v[100:101], off offset:272
	global_load_dwordx4 v[40:43], v[100:101], off offset:288
	;; [unrolled: 1-line block ×8, first 2 shown]
	ds_read_b128 v[44:47], v235 offset:544
	ds_read_b128 v[48:51], v235 offset:1088
	;; [unrolled: 1-line block ×5, first 2 shown]
	s_waitcnt vmcnt(7) lgkmcnt(4)
	v_mul_f64 v[92:93], v[46:47], v[58:59]
	v_mul_f64 v[94:95], v[44:45], v[58:59]
	s_waitcnt vmcnt(6) lgkmcnt(3)
	v_mul_f64 v[102:103], v[50:51], v[42:43]
	v_mul_f64 v[104:105], v[48:49], v[42:43]
	;; [unrolled: 3-line block ×3, first 2 shown]
	v_fma_f64 v[92:93], v[44:45], v[56:57], -v[92:93]
	buffer_store_dword v56, off, s[60:63], 0 offset:224 ; 4-byte Folded Spill
	buffer_store_dword v57, off, s[60:63], 0 offset:228 ; 4-byte Folded Spill
	;; [unrolled: 1-line block ×4, first 2 shown]
	v_fma_f64 v[157:158], v[48:49], v[40:41], -v[102:103]
	s_waitcnt vmcnt(4) lgkmcnt(1)
	v_mul_f64 v[48:49], v[86:87], v[34:35]
	v_fma_f64 v[165:166], v[52:53], v[36:37], -v[106:107]
	s_waitcnt vmcnt(3) lgkmcnt(0)
	v_mul_f64 v[52:53], v[98:99], v[30:31]
	v_fma_f64 v[169:170], v[84:85], v[32:33], -v[48:49]
	v_fma_f64 v[173:174], v[96:97], v[28:29], -v[52:53]
	v_fma_f64 v[94:95], v[46:47], v[56:57], v[94:95]
	ds_read_b128 v[44:47], v235 offset:3264
	buffer_store_dword v40, off, s[60:63], 0 offset:160 ; 4-byte Folded Spill
	buffer_store_dword v41, off, s[60:63], 0 offset:164 ; 4-byte Folded Spill
	;; [unrolled: 1-line block ×8, first 2 shown]
	v_fma_f64 v[159:160], v[50:51], v[40:41], v[104:105]
	v_mul_f64 v[50:51], v[84:85], v[34:35]
	buffer_store_dword v32, off, s[60:63], 0 offset:128 ; 4-byte Folded Spill
	buffer_store_dword v33, off, s[60:63], 0 offset:132 ; 4-byte Folded Spill
	;; [unrolled: 1-line block ×4, first 2 shown]
	s_waitcnt vmcnt(2) lgkmcnt(0)
	v_mul_f64 v[84:85], v[46:47], v[26:27]
	v_fma_f64 v[167:168], v[54:55], v[36:37], v[108:109]
	v_mul_f64 v[54:55], v[96:97], v[30:31]
	buffer_store_dword v28, off, s[60:63], 0 offset:112 ; 4-byte Folded Spill
	buffer_store_dword v29, off, s[60:63], 0 offset:116 ; 4-byte Folded Spill
	;; [unrolled: 1-line block ×4, first 2 shown]
	v_fma_f64 v[177:178], v[44:45], v[24:25], -v[84:85]
	v_fma_f64 v[171:172], v[86:87], v[32:33], v[50:51]
	v_mul_f64 v[86:87], v[44:45], v[26:27]
	ds_read_b128 v[48:51], v235 offset:3808
	buffer_store_dword v24, off, s[60:63], 0 offset:96 ; 4-byte Folded Spill
	buffer_store_dword v25, off, s[60:63], 0 offset:100 ; 4-byte Folded Spill
	;; [unrolled: 1-line block ×4, first 2 shown]
	v_fma_f64 v[175:176], v[98:99], v[28:29], v[54:55]
	s_waitcnt vmcnt(1) lgkmcnt(0)
	v_mul_f64 v[44:45], v[50:51], v[22:23]
	v_fma_f64 v[161:162], v[48:49], v[20:21], -v[44:45]
	v_add_f64 v[240:241], v[177:178], v[161:162]
	v_fma_f64 v[179:180], v[46:47], v[24:25], v[86:87]
	v_mul_f64 v[46:47], v[48:49], v[22:23]
	buffer_store_dword v20, off, s[60:63], 0 offset:80 ; 4-byte Folded Spill
	buffer_store_dword v21, off, s[60:63], 0 offset:84 ; 4-byte Folded Spill
	;; [unrolled: 1-line block ×4, first 2 shown]
	v_fma_f64 v[163:164], v[50:51], v[20:21], v[46:47]
	ds_read_b128 v[44:47], v235 offset:4352
	s_waitcnt vmcnt(0) lgkmcnt(0)
	v_mul_f64 v[48:49], v[46:47], v[18:19]
	v_add_f64 v[246:247], v[179:180], v[163:164]
	v_fma_f64 v[152:153], v[44:45], v[16:17], -v[48:49]
	v_mul_f64 v[44:45], v[44:45], v[18:19]
	buffer_store_dword v16, off, s[60:63], 0 offset:64 ; 4-byte Folded Spill
	buffer_store_dword v17, off, s[60:63], 0 offset:68 ; 4-byte Folded Spill
	buffer_store_dword v18, off, s[60:63], 0 offset:72 ; 4-byte Folded Spill
	buffer_store_dword v19, off, s[60:63], 0 offset:76 ; 4-byte Folded Spill
	ds_read_b128 v[48:51], v235 offset:4896
	v_add_f64 v[231:232], v[173:174], -v[152:153]
	v_mul_f64 v[236:237], v[231:232], s[24:25]
	v_fma_f64 v[154:155], v[46:47], v[16:17], v[44:45]
	global_load_dwordx4 v[16:19], v[100:101], off offset:400
	v_add_f64 v[229:230], v[175:176], -v[154:155]
	v_mul_f64 v[233:234], v[229:230], s[24:25]
	s_waitcnt vmcnt(0) lgkmcnt(0)
	v_mul_f64 v[52:53], v[50:51], v[18:19]
	v_fma_f64 v[148:149], v[48:49], v[16:17], -v[52:53]
	v_mul_f64 v[48:49], v[48:49], v[18:19]
	buffer_store_dword v16, off, s[60:63], 0 offset:176 ; 4-byte Folded Spill
	buffer_store_dword v17, off, s[60:63], 0 offset:180 ; 4-byte Folded Spill
	buffer_store_dword v18, off, s[60:63], 0 offset:184 ; 4-byte Folded Spill
	buffer_store_dword v19, off, s[60:63], 0 offset:188 ; 4-byte Folded Spill
	ds_read_b128 v[52:55], v235 offset:5440
	v_add_f64 v[211:212], v[169:170], -v[148:149]
	v_mul_f64 v[227:228], v[211:212], s[20:21]
	v_fma_f64 v[150:151], v[50:51], v[16:17], v[48:49]
	global_load_dwordx4 v[16:19], v[100:101], off offset:416
	v_add_f64 v[209:210], v[171:172], -v[150:151]
	v_mul_f64 v[225:226], v[209:210], s[20:21]
	s_waitcnt vmcnt(0) lgkmcnt(0)
	v_mul_f64 v[84:85], v[54:55], v[18:19]
	v_fma_f64 v[144:145], v[52:53], v[16:17], -v[84:85]
	v_mul_f64 v[52:53], v[52:53], v[18:19]
	buffer_store_dword v16, off, s[60:63], 0 offset:192 ; 4-byte Folded Spill
	buffer_store_dword v17, off, s[60:63], 0 offset:196 ; 4-byte Folded Spill
	;; [unrolled: 1-line block ×4, first 2 shown]
	ds_read_b128 v[84:87], v235 offset:5984
	v_fma_f64 v[146:147], v[54:55], v[16:17], v[52:53]
	global_load_dwordx4 v[16:19], v[100:101], off offset:432
	s_waitcnt vmcnt(0) lgkmcnt(0)
	v_mul_f64 v[96:97], v[86:87], v[18:19]
	v_fma_f64 v[132:133], v[84:85], v[16:17], -v[96:97]
	v_mul_f64 v[84:85], v[84:85], v[18:19]
	buffer_store_dword v16, off, s[60:63], 0 offset:208 ; 4-byte Folded Spill
	buffer_store_dword v17, off, s[60:63], 0 offset:212 ; 4-byte Folded Spill
	;; [unrolled: 1-line block ×4, first 2 shown]
	ds_read_b128 v[96:99], v235 offset:6528
	v_fma_f64 v[134:135], v[86:87], v[16:17], v[84:85]
	global_load_dwordx4 v[84:87], v[100:101], off offset:448
	s_waitcnt vmcnt(0) lgkmcnt(0)
	v_mul_f64 v[100:101], v[98:99], v[86:87]
	v_fma_f64 v[181:182], v[96:97], v[84:85], -v[100:101]
	v_mul_f64 v[96:97], v[96:97], v[86:87]
	v_add_f64 v[108:109], v[92:93], v[181:182]
	v_fma_f64 v[183:184], v[98:99], v[84:85], v[96:97]
	v_add_f64 v[96:97], v[94:95], -v[183:184]
	v_add_f64 v[126:127], v[94:95], v[183:184]
	v_mul_f64 v[98:99], v[96:97], s[22:23]
	v_mul_f64 v[100:101], v[96:97], s[28:29]
	v_mul_f64 v[102:103], v[96:97], s[30:31]
	v_mul_f64 v[104:105], v[96:97], s[20:21]
	v_mul_f64 v[106:107], v[96:97], s[24:25]
	v_mul_f64 v[96:97], v[96:97], s[34:35]
	v_fma_f64 v[112:113], v[108:109], s[16:17], -v[98:99]
	v_fma_f64 v[98:99], v[108:109], s[16:17], v[98:99]
	v_fma_f64 v[114:115], v[108:109], s[10:11], -v[100:101]
	v_fma_f64 v[100:101], v[108:109], s[10:11], v[100:101]
	v_fma_f64 v[116:117], v[108:109], s[2:3], -v[102:103]
	v_fma_f64 v[138:139], v[108:109], s[26:27], -v[96:97]
	v_fma_f64 v[140:141], v[108:109], s[26:27], v[96:97]
	v_add_f64 v[96:97], v[92:93], -v[181:182]
	v_fma_f64 v[102:103], v[108:109], s[2:3], v[102:103]
	v_fma_f64 v[120:121], v[108:109], s[8:9], -v[104:105]
	v_fma_f64 v[104:105], v[108:109], s[8:9], v[104:105]
	v_fma_f64 v[122:123], v[108:109], s[18:19], -v[106:107]
	v_fma_f64 v[136:137], v[108:109], s[18:19], v[106:107]
	v_mul_f64 v[118:119], v[96:97], s[20:21]
	v_mul_f64 v[108:109], v[96:97], s[28:29]
	;; [unrolled: 1-line block ×6, first 2 shown]
	s_mov_b32 s23, 0x3fddbe06
	v_fma_f64 v[193:194], v[126:127], s[8:9], v[118:119]
	v_fma_f64 v[130:131], v[126:127], s[10:11], v[108:109]
	v_fma_f64 v[142:143], v[126:127], s[10:11], -v[108:109]
	v_fma_f64 v[189:190], v[126:127], s[2:3], v[110:111]
	v_fma_f64 v[191:192], v[126:127], s[2:3], -v[110:111]
	ds_read_b128 v[108:111], v235
	v_fma_f64 v[197:198], v[126:127], s[18:19], v[124:125]
	v_fma_f64 v[199:200], v[126:127], s[18:19], -v[124:125]
	v_fma_f64 v[201:202], v[126:127], s[26:27], v[96:97]
	v_fma_f64 v[128:129], v[126:127], s[16:17], v[106:107]
	v_fma_f64 v[106:107], v[126:127], s[16:17], -v[106:107]
	v_fma_f64 v[195:196], v[126:127], s[8:9], -v[118:119]
	;; [unrolled: 1-line block ×3, first 2 shown]
	s_waitcnt lgkmcnt(0)
	v_add_f64 v[124:125], v[110:111], v[193:194]
	v_add_f64 v[193:194], v[159:160], -v[134:135]
	v_add_f64 v[205:206], v[108:109], v[112:113]
	v_add_f64 v[112:113], v[110:111], v[130:131]
	;; [unrolled: 1-line block ×8, first 2 shown]
	v_add_f64 v[201:202], v[167:168], -v[146:147]
	v_add_f64 v[185:186], v[108:109], v[92:93]
	v_add_f64 v[187:188], v[110:111], v[94:95]
	;; [unrolled: 1-line block ×12, first 2 shown]
	v_mul_f64 v[213:214], v[193:194], s[28:29]
	v_add_f64 v[128:129], v[110:111], v[197:198]
	v_add_f64 v[138:139], v[108:109], v[138:139]
	v_add_f64 v[142:143], v[108:109], v[140:141]
	v_add_f64 v[195:196], v[157:158], -v[132:133]
	v_add_f64 v[197:198], v[165:166], v[144:145]
	v_add_f64 v[100:101], v[110:111], v[191:192]
	;; [unrolled: 1-line block ×4, first 2 shown]
	v_mul_f64 v[217:218], v[201:202], s[30:31]
	v_add_f64 v[191:192], v[159:160], v[134:135]
	v_add_f64 v[203:204], v[165:166], -v[144:145]
	v_add_f64 v[157:158], v[185:186], v[157:158]
	v_add_f64 v[159:160], v[187:188], v[159:160]
	v_fma_f64 v[108:109], v[189:190], s[10:11], -v[213:214]
	v_fma_f64 v[213:214], v[189:190], s[10:11], v[213:214]
	v_mul_f64 v[215:216], v[195:196], s[28:29]
	v_fma_f64 v[199:200], v[197:198], s[2:3], -v[217:218]
	v_mul_f64 v[219:220], v[203:204], s[30:31]
	v_add_f64 v[157:158], v[157:158], v[165:166]
	v_add_f64 v[159:160], v[159:160], v[167:168]
	;; [unrolled: 1-line block ×4, first 2 shown]
	v_fma_f64 v[110:111], v[191:192], s[10:11], v[215:216]
	v_fma_f64 v[213:214], v[191:192], s[10:11], -v[215:216]
	v_add_f64 v[157:158], v[157:158], v[169:170]
	v_add_f64 v[159:160], v[159:160], v[171:172]
	;; [unrolled: 1-line block ×6, first 2 shown]
	v_fma_f64 v[213:214], v[197:198], s[2:3], v[217:218]
	v_add_f64 v[157:158], v[157:158], v[173:174]
	v_add_f64 v[159:160], v[159:160], v[175:176]
	v_fma_f64 v[205:206], v[199:200], s[2:3], v[219:220]
	v_add_f64 v[94:95], v[213:214], v[94:95]
	v_fma_f64 v[213:214], v[199:200], s[2:3], -v[219:220]
	v_add_f64 v[157:158], v[157:158], v[177:178]
	v_add_f64 v[159:160], v[159:160], v[179:180]
	v_add_f64 v[110:111], v[205:206], v[110:111]
	v_add_f64 v[205:206], v[169:170], v[148:149]
	v_add_f64 v[92:93], v[213:214], v[92:93]
	v_add_f64 v[157:158], v[157:158], v[161:162]
	v_add_f64 v[159:160], v[159:160], v[163:164]
	v_fma_f64 v[207:208], v[205:206], s[8:9], -v[225:226]
	v_fma_f64 v[213:214], v[205:206], s[8:9], v[225:226]
	v_add_f64 v[108:109], v[207:208], v[108:109]
	v_add_f64 v[207:208], v[171:172], v[150:151]
	v_add_f64 v[94:95], v[213:214], v[94:95]
	v_fma_f64 v[221:222], v[207:208], s[8:9], v[227:228]
	v_fma_f64 v[213:214], v[207:208], s[8:9], -v[227:228]
	v_add_f64 v[110:111], v[221:222], v[110:111]
	v_add_f64 v[221:222], v[173:174], v[152:153]
	;; [unrolled: 1-line block ×4, first 2 shown]
	v_fma_f64 v[223:224], v[221:222], s[18:19], -v[233:234]
	v_fma_f64 v[213:214], v[221:222], s[18:19], v[233:234]
	v_add_f64 v[148:149], v[152:153], v[148:149]
	v_add_f64 v[108:109], v[223:224], v[108:109]
	;; [unrolled: 1-line block ×6, first 2 shown]
	v_fma_f64 v[238:239], v[223:224], s[18:19], v[236:237]
	v_fma_f64 v[213:214], v[223:224], s[18:19], -v[236:237]
	v_add_f64 v[132:133], v[144:145], v[132:133]
	buffer_load_dword v144, off, s[60:63], 0 offset:4 ; 4-byte Folded Reload
	v_add_f64 v[150:151], v[154:155], v[150:151]
	v_add_f64 v[110:111], v[238:239], v[110:111]
	v_add_f64 v[238:239], v[179:180], -v[163:164]
	v_add_f64 v[213:214], v[213:214], v[92:93]
	v_add_f64 v[132:133], v[132:133], v[181:182]
	;; [unrolled: 1-line block ×3, first 2 shown]
	v_mul_f64 v[242:243], v[238:239], s[34:35]
	v_add_f64 v[134:135], v[146:147], v[134:135]
	v_fma_f64 v[244:245], v[240:241], s[26:27], -v[242:243]
	v_fma_f64 v[92:93], v[240:241], s[26:27], v[242:243]
	v_add_f64 v[134:135], v[134:135], v[183:184]
	v_add_f64 v[108:109], v[244:245], v[108:109]
	v_add_f64 v[244:245], v[177:178], -v[161:162]
	v_add_f64 v[92:93], v[92:93], v[94:95]
	v_mul_f64 v[248:249], v[244:245], s[34:35]
	v_fma_f64 v[215:216], v[246:247], s[26:27], -v[248:249]
	v_fma_f64 v[250:251], v[246:247], s[26:27], v[248:249]
	v_mul_f64 v[248:249], v[238:239], s[22:23]
	v_add_f64 v[94:95], v[215:216], v[213:214]
	v_mul_f64 v[213:214], v[193:194], s[20:21]
	v_add_f64 v[110:111], v[250:251], v[110:111]
	v_mul_f64 v[250:251], v[244:245], s[22:23]
	v_fma_f64 v[215:216], v[189:190], s[8:9], -v[213:214]
	v_fma_f64 v[213:214], v[189:190], s[8:9], v[213:214]
	v_add_f64 v[114:115], v[215:216], v[114:115]
	v_mul_f64 v[215:216], v[195:196], s[20:21]
	v_add_f64 v[98:99], v[213:214], v[98:99]
	v_fma_f64 v[217:218], v[191:192], s[8:9], v[215:216]
	v_fma_f64 v[213:214], v[191:192], s[8:9], -v[215:216]
	v_fma_f64 v[215:216], v[246:247], s[16:17], -v[250:251]
	v_add_f64 v[112:113], v[217:218], v[112:113]
	v_mul_f64 v[217:218], v[201:202], s[34:35]
	v_add_f64 v[96:97], v[213:214], v[96:97]
	v_fma_f64 v[219:220], v[197:198], s[26:27], -v[217:218]
	v_fma_f64 v[213:214], v[197:198], s[26:27], v[217:218]
	v_add_f64 v[114:115], v[219:220], v[114:115]
	v_mul_f64 v[219:220], v[203:204], s[34:35]
	v_add_f64 v[98:99], v[213:214], v[98:99]
	v_fma_f64 v[225:226], v[199:200], s[26:27], v[219:220]
	v_fma_f64 v[213:214], v[199:200], s[26:27], -v[219:220]
	v_add_f64 v[112:113], v[225:226], v[112:113]
	v_mul_f64 v[225:226], v[209:210], s[38:39]
	v_add_f64 v[96:97], v[213:214], v[96:97]
	v_fma_f64 v[227:228], v[205:206], s[18:19], -v[225:226]
	v_fma_f64 v[213:214], v[205:206], s[18:19], v[225:226]
	v_add_f64 v[114:115], v[227:228], v[114:115]
	v_mul_f64 v[227:228], v[211:212], s[38:39]
	v_add_f64 v[98:99], v[213:214], v[98:99]
	v_fma_f64 v[233:234], v[207:208], s[18:19], v[227:228]
	v_fma_f64 v[213:214], v[207:208], s[18:19], -v[227:228]
	v_add_f64 v[112:113], v[233:234], v[112:113]
	v_mul_f64 v[233:234], v[229:230], s[36:37]
	v_add_f64 v[96:97], v[213:214], v[96:97]
	v_fma_f64 v[236:237], v[221:222], s[2:3], -v[233:234]
	v_fma_f64 v[213:214], v[221:222], s[2:3], v[233:234]
	v_add_f64 v[114:115], v[236:237], v[114:115]
	v_mul_f64 v[236:237], v[231:232], s[36:37]
	v_add_f64 v[98:99], v[213:214], v[98:99]
	v_fma_f64 v[213:214], v[223:224], s[2:3], -v[236:237]
	v_fma_f64 v[242:243], v[223:224], s[2:3], v[236:237]
	v_add_f64 v[213:214], v[213:214], v[96:97]
	v_fma_f64 v[96:97], v[240:241], s[16:17], v[248:249]
	v_add_f64 v[242:243], v[242:243], v[112:113]
	v_fma_f64 v[112:113], v[240:241], s[16:17], -v[248:249]
	v_mul_f64 v[248:249], v[238:239], s[24:25]
	v_add_f64 v[96:97], v[96:97], v[98:99]
	v_add_f64 v[98:99], v[215:216], v[213:214]
	v_mul_f64 v[213:214], v[193:194], s[34:35]
	v_add_f64 v[112:113], v[112:113], v[114:115]
	v_fma_f64 v[114:115], v[246:247], s[16:17], v[250:251]
	v_mul_f64 v[250:251], v[244:245], s[24:25]
	v_fma_f64 v[215:216], v[189:190], s[26:27], -v[213:214]
	v_fma_f64 v[213:214], v[189:190], s[26:27], v[213:214]
	v_add_f64 v[114:115], v[114:115], v[242:243]
	v_add_f64 v[118:119], v[215:216], v[118:119]
	v_mul_f64 v[215:216], v[195:196], s[34:35]
	v_add_f64 v[102:103], v[213:214], v[102:103]
	s_mov_b32 s35, 0x3fcea1e5
	v_fma_f64 v[217:218], v[191:192], s[26:27], v[215:216]
	v_fma_f64 v[213:214], v[191:192], s[26:27], -v[215:216]
	v_fma_f64 v[215:216], v[246:247], s[18:19], -v[250:251]
	v_add_f64 v[116:117], v[217:218], v[116:117]
	v_mul_f64 v[217:218], v[201:202], s[40:41]
	v_add_f64 v[100:101], v[213:214], v[100:101]
	v_fma_f64 v[219:220], v[197:198], s[8:9], -v[217:218]
	v_fma_f64 v[213:214], v[197:198], s[8:9], v[217:218]
	v_add_f64 v[118:119], v[219:220], v[118:119]
	v_mul_f64 v[219:220], v[203:204], s[40:41]
	v_add_f64 v[102:103], v[213:214], v[102:103]
	v_fma_f64 v[225:226], v[199:200], s[8:9], v[219:220]
	v_fma_f64 v[213:214], v[199:200], s[8:9], -v[219:220]
	v_add_f64 v[116:117], v[225:226], v[116:117]
	v_mul_f64 v[225:226], v[209:210], s[22:23]
	v_add_f64 v[100:101], v[213:214], v[100:101]
	v_fma_f64 v[227:228], v[205:206], s[16:17], -v[225:226]
	v_fma_f64 v[213:214], v[205:206], s[16:17], v[225:226]
	v_add_f64 v[118:119], v[227:228], v[118:119]
	v_mul_f64 v[227:228], v[211:212], s[22:23]
	v_add_f64 v[102:103], v[213:214], v[102:103]
	v_fma_f64 v[233:234], v[207:208], s[16:17], v[227:228]
	v_fma_f64 v[213:214], v[207:208], s[16:17], -v[227:228]
	v_add_f64 v[116:117], v[233:234], v[116:117]
	v_mul_f64 v[233:234], v[229:230], s[28:29]
	v_add_f64 v[100:101], v[213:214], v[100:101]
	v_fma_f64 v[236:237], v[221:222], s[10:11], -v[233:234]
	v_fma_f64 v[213:214], v[221:222], s[10:11], v[233:234]
	v_add_f64 v[118:119], v[236:237], v[118:119]
	v_mul_f64 v[236:237], v[231:232], s[28:29]
	v_add_f64 v[102:103], v[213:214], v[102:103]
	v_fma_f64 v[213:214], v[223:224], s[10:11], -v[236:237]
	v_fma_f64 v[242:243], v[223:224], s[10:11], v[236:237]
	v_add_f64 v[213:214], v[213:214], v[100:101]
	v_fma_f64 v[100:101], v[240:241], s[18:19], v[248:249]
	v_add_f64 v[242:243], v[242:243], v[116:117]
	v_fma_f64 v[116:117], v[240:241], s[18:19], -v[248:249]
	v_add_f64 v[100:101], v[100:101], v[102:103]
	v_add_f64 v[102:103], v[215:216], v[213:214]
	v_mul_f64 v[213:214], v[193:194], s[38:39]
	v_add_f64 v[116:117], v[116:117], v[118:119]
	v_fma_f64 v[118:119], v[246:247], s[18:19], v[250:251]
	v_fma_f64 v[215:216], v[189:190], s[18:19], -v[213:214]
	v_fma_f64 v[213:214], v[189:190], s[18:19], v[213:214]
	v_add_f64 v[118:119], v[118:119], v[242:243]
	v_add_f64 v[126:127], v[215:216], v[126:127]
	v_mul_f64 v[215:216], v[195:196], s[38:39]
	v_add_f64 v[106:107], v[213:214], v[106:107]
	v_fma_f64 v[217:218], v[191:192], s[18:19], v[215:216]
	v_fma_f64 v[213:214], v[191:192], s[18:19], -v[215:216]
	v_add_f64 v[124:125], v[217:218], v[124:125]
	v_mul_f64 v[217:218], v[201:202], s[22:23]
	v_add_f64 v[104:105], v[213:214], v[104:105]
	v_fma_f64 v[219:220], v[197:198], s[16:17], -v[217:218]
	v_fma_f64 v[213:214], v[197:198], s[16:17], v[217:218]
	v_add_f64 v[126:127], v[219:220], v[126:127]
	v_mul_f64 v[219:220], v[203:204], s[22:23]
	v_add_f64 v[106:107], v[213:214], v[106:107]
	v_fma_f64 v[225:226], v[199:200], s[16:17], v[219:220]
	v_fma_f64 v[213:214], v[199:200], s[16:17], -v[219:220]
	v_add_f64 v[124:125], v[225:226], v[124:125]
	v_mul_f64 v[225:226], v[209:210], s[30:31]
	v_add_f64 v[104:105], v[213:214], v[104:105]
	v_fma_f64 v[227:228], v[205:206], s[2:3], -v[225:226]
	v_fma_f64 v[213:214], v[205:206], s[2:3], v[225:226]
	v_add_f64 v[126:127], v[227:228], v[126:127]
	v_mul_f64 v[227:228], v[211:212], s[30:31]
	v_add_f64 v[106:107], v[213:214], v[106:107]
	s_mov_b32 s31, 0x3fea55e2
	s_mov_b32 s30, s28
	v_mul_f64 v[248:249], v[238:239], s[30:31]
	v_mul_f64 v[250:251], v[244:245], s[30:31]
	v_fma_f64 v[233:234], v[207:208], s[2:3], v[227:228]
	v_fma_f64 v[213:214], v[207:208], s[2:3], -v[227:228]
	v_fma_f64 v[215:216], v[246:247], s[10:11], -v[250:251]
	v_add_f64 v[124:125], v[233:234], v[124:125]
	v_mul_f64 v[233:234], v[229:230], s[34:35]
	v_add_f64 v[104:105], v[213:214], v[104:105]
	v_fma_f64 v[236:237], v[221:222], s[26:27], -v[233:234]
	v_fma_f64 v[213:214], v[221:222], s[26:27], v[233:234]
	v_add_f64 v[126:127], v[236:237], v[126:127]
	v_mul_f64 v[236:237], v[231:232], s[34:35]
	v_add_f64 v[106:107], v[213:214], v[106:107]
	v_fma_f64 v[213:214], v[223:224], s[26:27], -v[236:237]
	v_fma_f64 v[242:243], v[223:224], s[26:27], v[236:237]
	v_add_f64 v[213:214], v[213:214], v[104:105]
	v_fma_f64 v[104:105], v[240:241], s[10:11], v[248:249]
	v_add_f64 v[242:243], v[242:243], v[124:125]
	v_fma_f64 v[124:125], v[240:241], s[10:11], -v[248:249]
	v_mul_f64 v[248:249], v[238:239], s[20:21]
	v_add_f64 v[104:105], v[104:105], v[106:107]
	v_add_f64 v[106:107], v[215:216], v[213:214]
	v_mul_f64 v[213:214], v[193:194], s[36:37]
	v_add_f64 v[124:125], v[124:125], v[126:127]
	v_fma_f64 v[126:127], v[246:247], s[10:11], v[250:251]
	v_mul_f64 v[250:251], v[244:245], s[20:21]
	v_mul_f64 v[193:194], v[193:194], s[22:23]
	v_fma_f64 v[215:216], v[189:190], s[2:3], -v[213:214]
	v_fma_f64 v[213:214], v[189:190], s[2:3], v[213:214]
	v_add_f64 v[126:127], v[126:127], v[242:243]
	v_add_f64 v[130:131], v[215:216], v[130:131]
	v_mul_f64 v[215:216], v[195:196], s[36:37]
	v_add_f64 v[122:123], v[213:214], v[122:123]
	v_mul_f64 v[195:196], v[195:196], s[22:23]
	v_fma_f64 v[217:218], v[191:192], s[2:3], v[215:216]
	v_fma_f64 v[213:214], v[191:192], s[2:3], -v[215:216]
	v_fma_f64 v[215:216], v[246:247], s[8:9], -v[250:251]
	v_add_f64 v[128:129], v[217:218], v[128:129]
	v_mul_f64 v[217:218], v[201:202], s[28:29]
	v_add_f64 v[120:121], v[213:214], v[120:121]
	v_mul_f64 v[201:202], v[201:202], s[24:25]
	v_fma_f64 v[219:220], v[197:198], s[10:11], -v[217:218]
	v_fma_f64 v[213:214], v[197:198], s[10:11], v[217:218]
	v_add_f64 v[130:131], v[219:220], v[130:131]
	v_mul_f64 v[219:220], v[203:204], s[28:29]
	v_add_f64 v[122:123], v[213:214], v[122:123]
	v_mul_f64 v[203:204], v[203:204], s[24:25]
	v_fma_f64 v[225:226], v[199:200], s[10:11], v[219:220]
	v_fma_f64 v[213:214], v[199:200], s[10:11], -v[219:220]
	v_mul_f64 v[219:220], v[238:239], s[36:37]
	v_add_f64 v[128:129], v[225:226], v[128:129]
	v_mul_f64 v[225:226], v[209:210], s[34:35]
	v_add_f64 v[120:121], v[213:214], v[120:121]
	v_mul_f64 v[209:210], v[209:210], s[30:31]
	v_fma_f64 v[227:228], v[205:206], s[26:27], -v[225:226]
	v_fma_f64 v[213:214], v[205:206], s[26:27], v[225:226]
	v_mul_f64 v[225:226], v[244:245], s[36:37]
	v_add_f64 v[130:131], v[227:228], v[130:131]
	v_mul_f64 v[227:228], v[211:212], s[34:35]
	v_add_f64 v[122:123], v[213:214], v[122:123]
	v_mul_f64 v[211:212], v[211:212], s[30:31]
	v_fma_f64 v[233:234], v[207:208], s[26:27], v[227:228]
	v_fma_f64 v[213:214], v[207:208], s[26:27], -v[227:228]
	v_add_f64 v[128:129], v[233:234], v[128:129]
	v_mul_f64 v[233:234], v[229:230], s[22:23]
	v_add_f64 v[120:121], v[213:214], v[120:121]
	v_fma_f64 v[236:237], v[221:222], s[16:17], -v[233:234]
	v_fma_f64 v[213:214], v[221:222], s[16:17], v[233:234]
	v_add_f64 v[130:131], v[236:237], v[130:131]
	v_mul_f64 v[236:237], v[231:232], s[22:23]
	v_add_f64 v[122:123], v[213:214], v[122:123]
	v_fma_f64 v[213:214], v[223:224], s[16:17], -v[236:237]
	v_fma_f64 v[242:243], v[223:224], s[16:17], v[236:237]
	s_waitcnt vmcnt(0)
	v_lshl_add_u32 v236, v252, 4, v144
	v_add_f64 v[213:214], v[213:214], v[120:121]
	v_fma_f64 v[120:121], v[240:241], s[8:9], v[248:249]
	v_add_f64 v[242:243], v[242:243], v[128:129]
	v_fma_f64 v[128:129], v[240:241], s[8:9], -v[248:249]
	v_add_f64 v[120:121], v[120:121], v[122:123]
	v_add_f64 v[122:123], v[215:216], v[213:214]
	v_fma_f64 v[213:214], v[189:190], s[16:17], -v[193:194]
	v_fma_f64 v[189:190], v[189:190], s[16:17], v[193:194]
	v_fma_f64 v[193:194], v[197:198], s[18:19], v[201:202]
	v_add_f64 v[128:129], v[128:129], v[130:131]
	v_fma_f64 v[130:131], v[246:247], s[8:9], v[250:251]
	v_add_f64 v[138:139], v[213:214], v[138:139]
	v_fma_f64 v[213:214], v[191:192], s[16:17], v[195:196]
	v_fma_f64 v[191:192], v[191:192], s[16:17], -v[195:196]
	v_fma_f64 v[195:196], v[199:200], s[18:19], -v[203:204]
	v_add_f64 v[142:143], v[189:190], v[142:143]
	v_fma_f64 v[189:190], v[205:206], s[10:11], v[209:210]
	v_add_f64 v[130:131], v[130:131], v[242:243]
	v_add_f64 v[136:137], v[213:214], v[136:137]
	v_fma_f64 v[213:214], v[197:198], s[18:19], -v[201:202]
	v_add_f64 v[140:141], v[191:192], v[140:141]
	v_fma_f64 v[191:192], v[207:208], s[10:11], -v[211:212]
	v_add_f64 v[142:143], v[193:194], v[142:143]
	v_add_f64 v[138:139], v[213:214], v[138:139]
	v_fma_f64 v[213:214], v[199:200], s[18:19], v[203:204]
	v_add_f64 v[140:141], v[195:196], v[140:141]
	v_add_f64 v[142:143], v[189:190], v[142:143]
	v_fma_f64 v[189:190], v[240:241], s[2:3], v[219:220]
	v_add_f64 v[136:137], v[213:214], v[136:137]
	v_fma_f64 v[213:214], v[205:206], s[10:11], -v[209:210]
	v_add_f64 v[140:141], v[191:192], v[140:141]
	v_fma_f64 v[191:192], v[246:247], s[2:3], -v[225:226]
	v_add_f64 v[138:139], v[213:214], v[138:139]
	v_fma_f64 v[213:214], v[207:208], s[10:11], v[211:212]
	v_add_f64 v[136:137], v[213:214], v[136:137]
	v_mul_f64 v[213:214], v[229:230], s[20:21]
	v_fma_f64 v[215:216], v[221:222], s[8:9], -v[213:214]
	v_fma_f64 v[193:194], v[221:222], s[8:9], v[213:214]
	v_add_f64 v[138:139], v[215:216], v[138:139]
	v_mul_f64 v[215:216], v[231:232], s[20:21]
	v_add_f64 v[142:143], v[193:194], v[142:143]
	v_fma_f64 v[217:218], v[223:224], s[8:9], v[215:216]
	v_fma_f64 v[195:196], v[223:224], s[8:9], -v[215:216]
	v_add_f64 v[217:218], v[217:218], v[136:137]
	v_fma_f64 v[136:137], v[240:241], s[2:3], -v[219:220]
	v_add_f64 v[193:194], v[195:196], v[140:141]
	v_add_f64 v[140:141], v[189:190], v[142:143]
	;; [unrolled: 1-line block ×3, first 2 shown]
	v_fma_f64 v[138:139], v[246:247], s[2:3], v[225:226]
	v_add_f64 v[142:143], v[191:192], v[193:194]
	v_add_f64 v[138:139], v[138:139], v[217:218]
	ds_write_b128 v236, v[108:111] offset:544
	ds_write_b128 v236, v[112:115] offset:1088
	ds_write_b128 v236, v[116:119] offset:1632
	ds_write_b128 v236, v[124:127] offset:2176
	ds_write_b128 v236, v[128:131] offset:2720
	ds_write_b128 v236, v[136:139] offset:3264
	ds_write_b128 v236, v[140:143] offset:3808
	ds_write_b128 v236, v[120:123] offset:4352
	ds_write_b128 v236, v[104:107] offset:4896
	ds_write_b128 v236, v[100:103] offset:5440
	ds_write_b128 v236, v[96:99] offset:5984
	ds_write_b128 v236, v[92:95] offset:6528
	ds_write_b128 v236, v[132:135]
	s_waitcnt lgkmcnt(0)
	s_waitcnt_vscnt null, 0x0
	s_barrier
	buffer_gl0_inv
	s_and_saveexec_b32 s8, vcc_lo
	s_cbranch_execz .LBB0_13
; %bb.12:
	buffer_load_dword v144, off, s[60:63], 0 ; 4-byte Folded Reload
	s_add_u32 s2, s12, 0x1ba0
	s_addc_u32 s3, s13, 0
	s_waitcnt vmcnt(0)
	v_lshlrev_b32_e32 v219, 4, v144
	s_clause 0x4
	global_load_dwordx4 v[146:149], v219, s[2:3]
	global_load_dwordx4 v[150:153], v219, s[2:3] offset:416
	global_load_dwordx4 v[159:162], v219, s[2:3] offset:832
	;; [unrolled: 1-line block ×4, first 2 shown]
	v_add_co_u32 v157, s1, s2, v219
	v_add_co_ci_u32_e64 v158, null, s3, 0, s1
	v_add_co_u32 v144, s1, 0x800, v157
	v_add_co_ci_u32_e64 v145, s1, 0, v158, s1
	v_add_co_u32 v211, s1, 0x1000, v157
	s_clause 0x3
	global_load_dwordx4 v[171:174], v[144:145], off offset:32
	global_load_dwordx4 v[175:178], v[144:145], off offset:448
	global_load_dwordx4 v[179:182], v[144:145], off offset:864
	global_load_dwordx4 v[183:186], v[144:145], off offset:1280
	ds_read_b128 v[187:190], v236
	ds_read_b128 v[195:198], v236 offset:416
	global_load_dwordx4 v[191:194], v[144:145], off offset:1696
	v_add_co_ci_u32_e64 v212, s1, 0, v158, s1
	v_add_co_u32 v157, s1, 0x1800, v157
	v_add_co_ci_u32_e64 v158, s1, 0, v158, s1
	ds_read_b128 v[199:202], v236 offset:1248
	ds_read_b128 v[207:210], v236 offset:5408
	;; [unrolled: 1-line block ×3, first 2 shown]
	s_waitcnt vmcnt(9) lgkmcnt(4)
	v_mul_f64 v[144:145], v[189:190], v[148:149]
	v_mul_f64 v[148:149], v[187:188], v[148:149]
	s_waitcnt vmcnt(8) lgkmcnt(3)
	v_mul_f64 v[203:204], v[197:198], v[152:153]
	v_mul_f64 v[205:206], v[195:196], v[152:153]
	ds_read_b128 v[152:155], v236 offset:832
	v_fma_f64 v[144:145], v[187:188], v[146:147], -v[144:145]
	v_fma_f64 v[146:147], v[189:190], v[146:147], v[148:149]
	global_load_dwordx4 v[187:190], v[211:212], off offset:64
	v_fma_f64 v[148:149], v[195:196], v[150:151], -v[203:204]
	s_waitcnt vmcnt(8) lgkmcnt(0)
	v_mul_f64 v[195:196], v[154:155], v[161:162]
	v_mul_f64 v[161:162], v[152:153], v[161:162]
	s_waitcnt vmcnt(7)
	v_mul_f64 v[203:204], v[201:202], v[165:166]
	v_mul_f64 v[165:166], v[199:200], v[165:166]
	v_fma_f64 v[150:151], v[197:198], v[150:151], v[205:206]
	v_fma_f64 v[152:153], v[152:153], v[159:160], -v[195:196]
	global_load_dwordx4 v[195:198], v[211:212], off offset:480
	v_fma_f64 v[154:155], v[154:155], v[159:160], v[161:162]
	ds_read_b128 v[159:162], v236 offset:1664
	v_fma_f64 v[199:200], v[199:200], v[163:164], -v[203:204]
	v_fma_f64 v[201:202], v[201:202], v[163:164], v[165:166]
	ds_read_b128 v[163:166], v236 offset:2080
	s_waitcnt vmcnt(7) lgkmcnt(1)
	v_mul_f64 v[203:204], v[161:162], v[169:170]
	v_mul_f64 v[169:170], v[159:160], v[169:170]
	v_fma_f64 v[159:160], v[159:160], v[167:168], -v[203:204]
	v_fma_f64 v[161:162], v[161:162], v[167:168], v[169:170]
	global_load_dwordx4 v[167:170], v[211:212], off offset:896
	s_waitcnt vmcnt(7) lgkmcnt(0)
	v_mul_f64 v[203:204], v[165:166], v[173:174]
	v_mul_f64 v[173:174], v[163:164], v[173:174]
	v_fma_f64 v[163:164], v[163:164], v[171:172], -v[203:204]
	v_fma_f64 v[165:166], v[165:166], v[171:172], v[173:174]
	ds_read_b128 v[171:174], v236 offset:2496
	s_waitcnt vmcnt(6) lgkmcnt(0)
	v_mul_f64 v[203:204], v[173:174], v[177:178]
	v_mul_f64 v[177:178], v[171:172], v[177:178]
	v_fma_f64 v[171:172], v[171:172], v[175:176], -v[203:204]
	v_fma_f64 v[173:174], v[173:174], v[175:176], v[177:178]
	ds_read_b128 v[175:178], v236 offset:2912
	;; [unrolled: 6-line block ×7, first 2 shown]
	s_waitcnt vmcnt(0) lgkmcnt(0)
	v_mul_f64 v[187:188], v[205:206], v[169:170]
	v_mul_f64 v[169:170], v[203:204], v[169:170]
	v_fma_f64 v[203:204], v[203:204], v[167:168], -v[187:188]
	v_fma_f64 v[205:206], v[205:206], v[167:168], v[169:170]
	global_load_dwordx4 v[167:170], v[211:212], off offset:1312
	s_waitcnt vmcnt(0)
	v_mul_f64 v[187:188], v[209:210], v[169:170]
	v_mul_f64 v[169:170], v[207:208], v[169:170]
	v_fma_f64 v[207:208], v[207:208], v[167:168], -v[187:188]
	v_fma_f64 v[209:210], v[209:210], v[167:168], v[169:170]
	global_load_dwordx4 v[167:170], v[211:212], off offset:1728
	ds_read_b128 v[211:214], v236 offset:5824
	s_waitcnt vmcnt(0) lgkmcnt(0)
	v_mul_f64 v[187:188], v[213:214], v[169:170]
	v_mul_f64 v[169:170], v[211:212], v[169:170]
	v_fma_f64 v[211:212], v[211:212], v[167:168], -v[187:188]
	v_fma_f64 v[213:214], v[213:214], v[167:168], v[169:170]
	global_load_dwordx4 v[167:170], v[157:158], off offset:96
	s_waitcnt vmcnt(0)
	v_mul_f64 v[157:158], v[217:218], v[169:170]
	v_mul_f64 v[169:170], v[215:216], v[169:170]
	v_fma_f64 v[215:216], v[215:216], v[167:168], -v[157:158]
	v_or_b32_e32 v157, 0x1a00, v219
	v_fma_f64 v[217:218], v[217:218], v[167:168], v[169:170]
	ds_read_b128 v[219:222], v236 offset:6656
	global_load_dwordx4 v[167:170], v157, s[2:3]
	s_waitcnt vmcnt(0) lgkmcnt(0)
	v_mul_f64 v[157:158], v[221:222], v[169:170]
	v_mul_f64 v[169:170], v[219:220], v[169:170]
	v_fma_f64 v[219:220], v[219:220], v[167:168], -v[157:158]
	v_fma_f64 v[221:222], v[221:222], v[167:168], v[169:170]
	ds_write_b128 v236, v[144:147]
	ds_write_b128 v236, v[148:151] offset:416
	ds_write_b128 v236, v[152:155] offset:832
	;; [unrolled: 1-line block ×16, first 2 shown]
.LBB0_13:
	s_or_b32 exec_lo, exec_lo, s8
	s_waitcnt lgkmcnt(0)
	s_barrier
	buffer_gl0_inv
	s_and_saveexec_b32 s1, vcc_lo
	s_cbranch_execz .LBB0_15
; %bb.14:
	ds_read_b128 v[132:135], v236
	ds_read_b128 v[108:111], v236 offset:416
	ds_read_b128 v[112:115], v236 offset:832
	;; [unrolled: 1-line block ×16, first 2 shown]
.LBB0_15:
	s_or_b32 exec_lo, exec_lo, s1
	s_waitcnt lgkmcnt(0)
	v_add_f64 v[203:204], v[110:111], -v[2:3]
	v_add_f64 v[213:214], v[110:111], v[2:3]
	s_mov_b32 s10, 0xeb564b22
	s_mov_b32 s8, 0x3259b75e
	;; [unrolled: 1-line block ×4, first 2 shown]
	v_add_f64 v[187:188], v[108:109], v[0:1]
	v_add_f64 v[249:250], v[114:115], -v[6:7]
	v_add_f64 v[225:226], v[108:109], -v[0:1]
	v_add_f64 v[157:158], v[114:115], v[6:7]
	s_mov_b32 s2, 0xacd6c6b4
	s_mov_b32 s16, 0x7faef3
	;; [unrolled: 1-line block ×4, first 2 shown]
	v_add_f64 v[152:153], v[112:113], v[4:5]
	v_add_f64 v[159:160], v[118:119], -v[10:11]
	v_add_f64 v[165:166], v[112:113], -v[4:5]
	v_add_f64 v[163:164], v[118:119], v[10:11]
	s_mov_b32 s22, 0x923c349f
	s_mov_b32 s26, 0xc61f0d01
	;; [unrolled: 1-line block ×4, first 2 shown]
	v_mul_f64 v[227:228], v[203:204], s[10:11]
	v_mul_f64 v[229:230], v[213:214], s[8:9]
	s_mov_b32 s18, s22
	s_mov_b32 s27, 0xbfd183b1
	v_add_f64 v[161:162], v[116:117], v[8:9]
	v_add_f64 v[169:170], v[126:127], -v[90:91]
	v_add_f64 v[175:176], v[116:117], -v[8:9]
	v_mul_f64 v[215:216], v[249:250], s[2:3]
	v_add_f64 v[171:172], v[126:127], v[90:91]
	v_mul_f64 v[22:23], v[157:158], s[16:17]
	s_mov_b32 s24, 0x5d8e7cdc
	s_mov_b32 s20, 0x370991
	;; [unrolled: 1-line block ×4, first 2 shown]
	v_add_f64 v[167:168], v[124:125], v[88:89]
	v_mul_f64 v[217:218], v[159:160], s[18:19]
	v_add_f64 v[173:174], v[124:125], -v[88:89]
	v_mul_f64 v[26:27], v[163:164], s[26:27]
	v_add_f64 v[179:180], v[130:131], -v[94:95]
	s_mov_b32 s38, 0x7c9e640b
	s_mov_b32 s39, 0xbfeca52d
	v_add_f64 v[181:182], v[130:131], v[94:95]
	v_fma_f64 v[144:145], v[187:188], s[8:9], -v[227:228]
	v_fma_f64 v[146:147], v[225:226], s[10:11], v[229:230]
	s_mov_b32 s28, 0x2b2883cd
	s_mov_b32 s29, 0x3fdc86fa
	v_add_f64 v[183:184], v[128:129], -v[92:93]
	v_mul_f64 v[18:19], v[169:170], s[24:25]
	v_add_f64 v[193:194], v[138:139], -v[98:99]
	v_fma_f64 v[148:149], v[152:153], s[16:17], -v[215:216]
	v_mul_f64 v[16:17], v[171:172], s[20:21]
	v_fma_f64 v[150:151], v[165:166], s[2:3], v[22:23]
	s_mov_b32 s34, 0x4363dd80
	s_mov_b32 s35, 0x3fe0d888
	;; [unrolled: 1-line block ×4, first 2 shown]
	v_add_f64 v[189:190], v[136:137], v[96:97]
	v_fma_f64 v[177:178], v[161:162], s[26:27], -v[217:218]
	v_add_f64 v[191:192], v[138:139], v[98:99]
	s_mov_b32 s30, 0x910ea3b9
	v_mul_f64 v[20:21], v[179:180], s[38:39]
	s_mov_b32 s31, 0xbfeb34fa
	v_add_f64 v[195:196], v[136:137], -v[96:97]
	v_mul_f64 v[30:31], v[181:182], s[28:29]
	v_add_f64 v[144:145], v[132:133], v[144:145]
	v_add_f64 v[146:147], v[134:135], v[146:147]
	v_add_f64 v[207:208], v[142:143], -v[102:103]
	s_mov_b32 s46, 0x6c9a05f6
	s_mov_b32 s47, 0x3fe9895b
	v_add_f64 v[197:198], v[140:141], v[100:101]
	v_mul_f64 v[24:25], v[193:194], s[36:37]
	v_add_f64 v[199:200], v[142:143], v[102:103]
	s_mov_b32 s40, 0x6ed5f1bb
	s_mov_b32 s41, 0xbfe348c8
	v_add_f64 v[209:210], v[140:141], -v[100:101]
	v_add_f64 v[211:212], v[122:123], -v[106:107]
	s_mov_b32 s44, 0x2a9d6da3
	s_mov_b32 s45, 0x3fe58eea
	v_add_f64 v[201:202], v[120:121], v[104:105]
	v_add_f64 v[205:206], v[122:123], v[106:107]
	v_mul_f64 v[219:220], v[191:192], s[30:31]
	s_mov_b32 s42, 0x75d4884
	s_mov_b32 s43, 0x3fe7a5f6
	v_add_f64 v[221:222], v[120:121], -v[104:105]
	v_mul_f64 v[231:232], v[203:204], s[22:23]
	v_mul_f64 v[54:55], v[249:250], s[34:35]
	v_add_f64 v[144:145], v[148:149], v[144:145]
	v_add_f64 v[146:147], v[150:151], v[146:147]
	v_fma_f64 v[148:149], v[175:176], s[18:19], v[26:27]
	v_fma_f64 v[150:151], v[167:168], s[20:21], -v[18:19]
	v_mul_f64 v[28:29], v[207:208], s[46:47]
	v_mul_f64 v[233:234], v[213:214], s[26:27]
	;; [unrolled: 1-line block ×12, first 2 shown]
	s_mov_b32 s53, 0x3fefdd0d
	s_mov_b32 s52, s10
	v_mul_f64 v[44:45], v[191:192], s[8:9]
	v_mul_f64 v[38:39], v[193:194], s[52:53]
	s_mov_b32 s51, 0xbfd71e95
	s_mov_b32 s50, s24
	v_add_f64 v[144:145], v[177:178], v[144:145]
	v_add_f64 v[177:178], v[128:129], v[92:93]
	;; [unrolled: 1-line block ×3, first 2 shown]
	v_fma_f64 v[148:149], v[173:174], s[24:25], v[16:17]
	v_mul_f64 v[241:242], v[207:208], s[50:51]
	v_mul_f64 v[48:49], v[199:200], s[20:21]
	v_fma_f64 v[185:186], v[165:166], s[34:35], v[52:53]
	s_mov_b32 s49, 0xbfe9895b
	s_mov_b32 s48, s46
	v_mul_f64 v[50:51], v[205:206], s[40:41]
	s_barrier
	buffer_gl0_inv
	v_add_f64 v[144:145], v[150:151], v[144:145]
	v_fma_f64 v[150:151], v[152:153], s[30:31], -v[54:55]
	v_add_f64 v[146:147], v[148:149], v[146:147]
	v_fma_f64 v[148:149], v[177:178], s[28:29], -v[20:21]
	v_fma_f64 v[239:240], v[209:210], s[50:51], v[48:49]
	v_fma_f64 v[237:238], v[221:222], s[48:49], v[50:51]
	v_add_f64 v[144:145], v[148:149], v[144:145]
	v_fma_f64 v[148:149], v[183:184], s[38:39], v[30:31]
	v_add_f64 v[146:147], v[148:149], v[146:147]
	v_fma_f64 v[148:149], v[189:190], s[30:31], -v[24:25]
	v_add_f64 v[144:145], v[148:149], v[144:145]
	v_fma_f64 v[148:149], v[195:196], s[36:37], v[219:220]
	v_add_f64 v[146:147], v[148:149], v[146:147]
	v_fma_f64 v[148:149], v[197:198], s[40:41], -v[28:29]
	;; [unrolled: 4-line block ×4, first 2 shown]
	v_add_f64 v[148:149], v[132:133], v[148:149]
	v_add_f64 v[148:149], v[150:151], v[148:149]
	v_fma_f64 v[150:151], v[225:226], s[22:23], v[233:234]
	v_add_f64 v[150:151], v[134:135], v[150:151]
	v_add_f64 v[150:151], v[185:186], v[150:151]
	v_fma_f64 v[185:186], v[161:162], s[42:43], -v[40:41]
	v_add_f64 v[148:149], v[185:186], v[148:149]
	v_fma_f64 v[185:186], v[175:176], s[44:45], v[243:244]
	v_add_f64 v[150:151], v[185:186], v[150:151]
	v_fma_f64 v[185:186], v[167:168], s[28:29], -v[42:43]
	v_add_f64 v[148:149], v[185:186], v[148:149]
	v_fma_f64 v[185:186], v[173:174], s[38:39], v[251:252]
	;; [unrolled: 4-line block ×4, first 2 shown]
	v_add_f64 v[150:151], v[185:186], v[150:151]
	v_fma_f64 v[185:186], v[197:198], s[20:21], -v[241:242]
	v_add_f64 v[150:151], v[239:240], v[150:151]
	v_add_f64 v[148:149], v[185:186], v[148:149]
	v_mul_f64 v[185:186], v[211:212], s[48:49]
	v_add_f64 v[150:151], v[237:238], v[150:151]
	v_fma_f64 v[253:254], v[201:202], s[40:41], -v[185:186]
	v_add_f64 v[148:149], v[253:254], v[148:149]
	s_and_saveexec_b32 s1, vcc_lo
	s_cbranch_execz .LBB0_17
; %bb.16:
	v_add_f64 v[108:109], v[132:133], v[108:109]
	v_add_f64 v[110:111], v[134:135], v[110:111]
	buffer_store_dword v241, off, s[60:63], 0 offset:300 ; 4-byte Folded Spill
	buffer_store_dword v242, off, s[60:63], 0 offset:304 ; 4-byte Folded Spill
	s_mov_b32 s55, 0xbfe58eea
	s_mov_b32 s54, s44
	v_mov_b32_e32 v154, v243
	v_mov_b32_e32 v155, v244
	s_mov_b32 s57, 0x3feca52d
	s_mov_b32 s56, s38
	v_add_f64 v[108:109], v[108:109], v[112:113]
	v_add_f64 v[110:111], v[110:111], v[114:115]
	v_mul_f64 v[112:113], v[225:226], s[36:37]
	v_mul_f64 v[114:115], v[225:226], s[48:49]
	v_add_f64 v[108:109], v[108:109], v[116:117]
	v_add_f64 v[110:111], v[110:111], v[118:119]
	v_mul_f64 v[118:119], v[225:226], s[50:51]
	v_mul_f64 v[116:117], v[225:226], s[38:39]
	v_add_f64 v[108:109], v[108:109], v[124:125]
	v_add_f64 v[110:111], v[110:111], v[126:127]
	v_fma_f64 v[126:127], v[213:214], s[30:31], v[112:113]
	v_fma_f64 v[112:113], v[213:214], s[30:31], -v[112:113]
	v_add_f64 v[108:109], v[108:109], v[128:129]
	v_add_f64 v[110:111], v[110:111], v[130:131]
	v_fma_f64 v[128:129], v[213:214], s[40:41], v[114:115]
	v_fma_f64 v[114:115], v[213:214], s[40:41], -v[114:115]
	v_fma_f64 v[130:131], v[213:214], s[28:29], v[116:117]
	v_fma_f64 v[116:117], v[213:214], s[28:29], -v[116:117]
	v_add_f64 v[243:244], v[134:135], v[112:113]
	v_add_f64 v[126:127], v[134:135], v[126:127]
	;; [unrolled: 1-line block ×3, first 2 shown]
	v_fma_f64 v[136:137], v[213:214], s[20:21], -v[118:119]
	v_add_f64 v[110:111], v[110:111], v[138:139]
	v_fma_f64 v[118:119], v[213:214], s[20:21], v[118:119]
	v_add_f64 v[245:246], v[134:135], v[114:115]
	v_add_f64 v[253:254], v[134:135], v[116:117]
	;; [unrolled: 1-line block ×7, first 2 shown]
	v_mul_f64 v[140:141], v[203:204], s[2:3]
	v_mul_f64 v[142:143], v[203:204], s[36:37]
	buffer_store_dword v56, off, s[60:63], 0 offset:276 ; 4-byte Folded Spill
	buffer_store_dword v57, off, s[60:63], 0 offset:280 ; 4-byte Folded Spill
	v_add_f64 v[108:109], v[108:109], v[120:121]
	v_add_f64 v[110:111], v[110:111], v[122:123]
	v_mul_f64 v[122:123], v[225:226], s[54:55]
	v_add_f64 v[104:105], v[108:109], v[104:105]
	v_mul_f64 v[108:109], v[187:188], s[8:9]
	;; [unrolled: 2-line block ×3, first 2 shown]
	v_fma_f64 v[138:139], v[213:214], s[42:43], -v[122:123]
	v_fma_f64 v[122:123], v[213:214], s[42:43], v[122:123]
	v_add_f64 v[100:101], v[104:105], v[100:101]
	v_add_f64 v[108:109], v[108:109], v[227:228]
	v_mul_f64 v[227:228], v[203:204], s[50:51]
	v_add_f64 v[120:121], v[106:107], v[102:103]
	v_mul_f64 v[102:103], v[225:226], s[22:23]
	v_mul_f64 v[104:105], v[187:188], s[26:27]
	;; [unrolled: 1-line block ×3, first 2 shown]
	v_fma_f64 v[124:125], v[213:214], s[16:17], v[110:111]
	v_fma_f64 v[110:111], v[213:214], s[16:17], -v[110:111]
	v_mul_f64 v[213:214], v[203:204], s[48:49]
	v_mul_f64 v[225:226], v[203:204], s[38:39]
	;; [unrolled: 1-line block ×3, first 2 shown]
	v_add_f64 v[100:101], v[100:101], v[96:97]
	v_add_f64 v[112:113], v[132:133], v[108:109]
	v_fma_f64 v[239:240], v[187:188], s[20:21], v[227:228]
	v_fma_f64 v[227:228], v[187:188], s[20:21], -v[227:228]
	v_add_f64 v[102:103], v[233:234], -v[102:103]
	v_add_f64 v[104:105], v[104:105], v[231:232]
	v_add_f64 v[106:107], v[229:230], -v[106:107]
	v_fma_f64 v[229:230], v[187:188], s[16:17], -v[140:141]
	v_fma_f64 v[140:141], v[187:188], s[16:17], v[140:141]
	v_fma_f64 v[231:232], v[187:188], s[30:31], -v[142:143]
	v_fma_f64 v[142:143], v[187:188], s[30:31], v[142:143]
	;; [unrolled: 2-line block ×4, first 2 shown]
	v_fma_f64 v[241:242], v[187:188], s[42:43], v[203:204]
	v_fma_f64 v[187:188], v[187:188], s[42:43], -v[203:204]
	v_add_f64 v[124:125], v[134:135], v[124:125]
	v_add_f64 v[120:121], v[120:121], v[98:99]
	v_mov_b32_e32 v109, v29
	v_mov_b32_e32 v108, v28
	;; [unrolled: 1-line block ×3, first 2 shown]
	v_add_f64 v[100:101], v[100:101], v[92:93]
	v_mov_b32_e32 v28, v24
	v_add_f64 v[56:57], v[132:133], v[239:240]
	v_mov_b32_e32 v25, v21
	v_add_f64 v[247:248], v[134:135], v[102:103]
	v_add_f64 v[104:105], v[132:133], v[104:105]
	v_mov_b32_e32 v102, v185
	v_add_f64 v[203:204], v[132:133], v[229:230]
	v_add_f64 v[140:141], v[132:133], v[140:141]
	v_add_f64 v[231:232], v[132:133], v[231:232]
	v_add_f64 v[142:143], v[132:133], v[142:143]
	v_add_f64 v[233:234], v[132:133], v[233:234]
	v_add_f64 v[213:214], v[132:133], v[213:214]
	v_add_f64 v[237:238], v[132:133], v[237:238]
	v_add_f64 v[225:226], v[132:133], v[225:226]
	v_add_f64 v[116:117], v[132:133], v[241:242]
	v_add_f64 v[114:115], v[132:133], v[187:188]
	v_add_f64 v[229:230], v[134:135], v[110:111]
	v_add_f64 v[110:111], v[134:135], v[106:107]
	v_add_f64 v[120:121], v[120:121], v[94:95]
	buffer_store_dword v56, off, s[60:63], 0 offset:284 ; 4-byte Folded Spill
	buffer_store_dword v57, off, s[60:63], 0 offset:288 ; 4-byte Folded Spill
	v_add_f64 v[56:57], v[134:135], v[118:119]
	v_add_f64 v[118:119], v[134:135], v[138:139]
	v_mov_b32_e32 v103, v186
	v_mov_b32_e32 v106, v223
	;; [unrolled: 1-line block ×10, first 2 shown]
	v_mul_f64 v[217:218], v[221:222], s[52:53]
	v_add_f64 v[100:101], v[100:101], v[88:89]
	buffer_store_dword v56, off, s[60:63], 0 offset:268 ; 4-byte Folded Spill
	buffer_store_dword v57, off, s[60:63], 0 offset:272 ; 4-byte Folded Spill
	v_add_f64 v[56:57], v[132:133], v[227:228]
	v_mul_f64 v[132:133], v[175:176], s[36:37]
	v_add_f64 v[120:121], v[120:121], v[90:91]
	buffer_store_dword v56, off, s[60:63], 0 offset:260 ; 4-byte Folded Spill
	buffer_store_dword v57, off, s[60:63], 0 offset:264 ; 4-byte Folded Spill
	v_add_f64 v[56:57], v[134:135], v[122:123]
	v_mul_f64 v[122:123], v[165:166], s[24:25]
	v_fma_f64 v[134:135], v[163:164], s[30:31], v[132:133]
	v_add_f64 v[100:101], v[100:101], v[8:9]
	v_add_f64 v[120:121], v[120:121], v[10:11]
	buffer_store_dword v56, off, s[60:63], 0 offset:292 ; 4-byte Folded Spill
	buffer_store_dword v57, off, s[60:63], 0 offset:296 ; 4-byte Folded Spill
	v_fma_f64 v[96:97], v[157:158], s[20:21], v[122:123]
	v_fma_f64 v[92:93], v[157:158], s[20:21], -v[122:123]
	v_fma_f64 v[122:123], v[163:164], s[30:31], -v[132:133]
	v_mov_b32_e32 v59, v7
	v_mov_b32_e32 v58, v6
	v_mov_b32_e32 v57, v5
	v_mov_b32_e32 v56, v4
	v_add_f64 v[120:121], v[120:121], v[58:59]
	v_add_f64 v[96:97], v[96:97], v[124:125]
	v_mul_f64 v[124:125], v[249:250], s[24:25]
	v_add_f64 v[92:93], v[92:93], v[229:230]
	v_add_f64 v[96:97], v[134:135], v[96:97]
	v_fma_f64 v[98:99], v[152:153], s[20:21], -v[124:125]
	v_mul_f64 v[134:135], v[159:160], s[36:37]
	v_fma_f64 v[94:95], v[152:153], s[20:21], v[124:125]
	v_add_f64 v[92:93], v[122:123], v[92:93]
	v_add_f64 v[98:99], v[98:99], v[203:204]
	v_fma_f64 v[136:137], v[161:162], s[30:31], -v[134:135]
	v_add_f64 v[94:95], v[94:95], v[140:141]
	v_fma_f64 v[122:123], v[161:162], s[30:31], v[134:135]
	v_add_f64 v[98:99], v[136:137], v[98:99]
	v_mul_f64 v[136:137], v[173:174], s[44:45]
	v_add_f64 v[94:95], v[122:123], v[94:95]
	v_fma_f64 v[138:139], v[171:172], s[42:43], v[136:137]
	v_fma_f64 v[122:123], v[171:172], s[42:43], -v[136:137]
	v_add_f64 v[96:97], v[138:139], v[96:97]
	v_mul_f64 v[138:139], v[169:170], s[44:45]
	v_add_f64 v[92:93], v[122:123], v[92:93]
	v_fma_f64 v[187:188], v[167:168], s[42:43], -v[138:139]
	v_fma_f64 v[122:123], v[167:168], s[42:43], v[138:139]
	v_add_f64 v[98:99], v[187:188], v[98:99]
	v_mul_f64 v[187:188], v[183:184], s[48:49]
	v_add_f64 v[94:95], v[122:123], v[94:95]
	v_fma_f64 v[203:204], v[181:182], s[40:41], v[187:188]
	v_fma_f64 v[122:123], v[181:182], s[40:41], -v[187:188]
	v_add_f64 v[96:97], v[203:204], v[96:97]
	v_mul_f64 v[203:204], v[179:180], s[48:49]
	v_add_f64 v[92:93], v[122:123], v[92:93]
	v_fma_f64 v[227:228], v[177:178], s[40:41], -v[203:204]
	v_fma_f64 v[122:123], v[177:178], s[40:41], v[203:204]
	v_add_f64 v[98:99], v[227:228], v[98:99]
	v_mul_f64 v[227:228], v[195:196], s[56:57]
	v_add_f64 v[94:95], v[122:123], v[94:95]
	v_fma_f64 v[239:240], v[191:192], s[28:29], v[227:228]
	v_fma_f64 v[122:123], v[191:192], s[28:29], -v[227:228]
	v_mul_f64 v[227:228], v[211:212], s[22:23]
	v_add_f64 v[96:97], v[239:240], v[96:97]
	v_mul_f64 v[239:240], v[193:194], s[56:57]
	v_add_f64 v[92:93], v[122:123], v[92:93]
	v_fma_f64 v[241:242], v[189:190], s[28:29], -v[239:240]
	v_fma_f64 v[122:123], v[189:190], s[28:29], v[239:240]
	v_add_f64 v[98:99], v[241:242], v[98:99]
	v_mul_f64 v[241:242], v[209:210], s[22:23]
	v_add_f64 v[94:95], v[122:123], v[94:95]
	v_fma_f64 v[185:186], v[199:200], s[26:27], v[241:242]
	v_fma_f64 v[122:123], v[199:200], s[26:27], -v[241:242]
	v_add_f64 v[96:97], v[185:186], v[96:97]
	v_mul_f64 v[185:186], v[207:208], s[22:23]
	v_add_f64 v[92:93], v[122:123], v[92:93]
	v_fma_f64 v[215:216], v[197:198], s[26:27], -v[185:186]
	v_fma_f64 v[122:123], v[197:198], s[26:27], v[185:186]
	v_add_f64 v[215:216], v[215:216], v[98:99]
	v_fma_f64 v[98:99], v[205:206], s[8:9], v[217:218]
	v_add_f64 v[122:123], v[122:123], v[94:95]
	v_fma_f64 v[94:95], v[205:206], s[8:9], -v[217:218]
	v_add_f64 v[6:7], v[98:99], v[96:97]
	v_mov_b32_e32 v99, v33
	v_mov_b32_e32 v98, v32
	;; [unrolled: 1-line block ×4, first 2 shown]
	v_mul_f64 v[219:220], v[211:212], s[52:53]
	v_add_f64 v[94:95], v[94:95], v[92:93]
	v_fma_f64 v[124:125], v[201:202], s[8:9], v[219:220]
	v_fma_f64 v[96:97], v[201:202], s[8:9], -v[219:220]
	v_mul_f64 v[219:220], v[221:222], s[22:23]
	v_add_f64 v[92:93], v[124:125], v[122:123]
	v_mul_f64 v[122:123], v[165:166], s[56:57]
	v_mul_f64 v[124:125], v[249:250], s[56:57]
	v_add_f64 v[4:5], v[96:97], v[215:216]
	buffer_store_dword v4, off, s[60:63], 0 offset:244 ; 4-byte Folded Spill
	buffer_store_dword v5, off, s[60:63], 0 offset:248 ; 4-byte Folded Spill
	;; [unrolled: 1-line block ×4, first 2 shown]
	v_fma_f64 v[88:89], v[157:158], s[28:29], v[122:123]
	v_fma_f64 v[90:91], v[152:153], s[28:29], -v[124:125]
	v_fma_f64 v[8:9], v[157:158], s[28:29], -v[122:123]
	v_fma_f64 v[10:11], v[152:153], s[28:29], v[124:125]
	v_fma_f64 v[124:125], v[201:202], s[26:27], v[227:228]
	v_mul_f64 v[4:5], v[165:166], s[34:35]
	v_mul_f64 v[6:7], v[175:176], s[44:45]
	v_add_f64 v[88:89], v[88:89], v[126:127]
	v_mul_f64 v[126:127], v[175:176], s[10:11]
	v_add_f64 v[90:91], v[90:91], v[231:232]
	v_add_f64 v[8:9], v[8:9], v[243:244]
	;; [unrolled: 1-line block ×3, first 2 shown]
	v_add_f64 v[4:5], v[52:53], -v[4:5]
	v_add_f64 v[6:7], v[154:155], -v[6:7]
	v_mul_f64 v[154:155], v[249:250], s[54:55]
	v_fma_f64 v[132:133], v[163:164], s[8:9], v[126:127]
	v_fma_f64 v[122:123], v[163:164], s[8:9], -v[126:127]
	v_add_f64 v[4:5], v[4:5], v[247:248]
	v_add_f64 v[88:89], v[132:133], v[88:89]
	v_mul_f64 v[132:133], v[159:160], s[10:11]
	v_add_f64 v[8:9], v[122:123], v[8:9]
	v_add_f64 v[4:5], v[6:7], v[4:5]
	v_mul_f64 v[6:7], v[173:174], s[36:37]
	v_fma_f64 v[134:135], v[161:162], s[8:9], -v[132:133]
	v_fma_f64 v[122:123], v[161:162], s[8:9], v[132:133]
	v_add_f64 v[90:91], v[134:135], v[90:91]
	v_mul_f64 v[134:135], v[173:174], s[46:47]
	v_add_f64 v[10:11], v[122:123], v[10:11]
	v_fma_f64 v[136:137], v[171:172], s[40:41], v[134:135]
	v_fma_f64 v[122:123], v[171:172], s[40:41], -v[134:135]
	v_add_f64 v[88:89], v[136:137], v[88:89]
	v_mul_f64 v[136:137], v[169:170], s[46:47]
	v_add_f64 v[8:9], v[122:123], v[8:9]
	v_fma_f64 v[138:139], v[167:168], s[40:41], -v[136:137]
	v_fma_f64 v[122:123], v[167:168], s[40:41], v[136:137]
	v_mul_f64 v[136:137], v[175:176], s[50:51]
	v_add_f64 v[90:91], v[138:139], v[90:91]
	v_mul_f64 v[138:139], v[183:184], s[50:51]
	v_add_f64 v[10:11], v[122:123], v[10:11]
	v_fma_f64 v[140:141], v[181:182], s[20:21], v[138:139]
	v_fma_f64 v[122:123], v[181:182], s[20:21], -v[138:139]
	v_fma_f64 v[138:139], v[163:164], s[20:21], v[136:137]
	v_fma_f64 v[136:137], v[163:164], s[20:21], -v[136:137]
	v_add_f64 v[88:89], v[140:141], v[88:89]
	v_mul_f64 v[140:141], v[179:180], s[50:51]
	v_add_f64 v[8:9], v[122:123], v[8:9]
	v_fma_f64 v[185:186], v[177:178], s[20:21], -v[140:141]
	v_fma_f64 v[122:123], v[177:178], s[20:21], v[140:141]
	v_add_f64 v[90:91], v[185:186], v[90:91]
	v_mul_f64 v[185:186], v[195:196], s[2:3]
	v_add_f64 v[10:11], v[122:123], v[10:11]
	v_fma_f64 v[187:188], v[191:192], s[16:17], v[185:186]
	v_fma_f64 v[122:123], v[191:192], s[16:17], -v[185:186]
	v_add_f64 v[185:186], v[100:101], v[56:57]
	v_mul_f64 v[100:101], v[152:153], s[30:31]
	v_add_f64 v[88:89], v[187:188], v[88:89]
	v_mul_f64 v[187:188], v[193:194], s[2:3]
	v_add_f64 v[8:9], v[122:123], v[8:9]
	v_add_f64 v[100:101], v[100:101], v[54:55]
	v_fma_f64 v[203:204], v[189:190], s[16:17], -v[187:188]
	v_fma_f64 v[122:123], v[189:190], s[16:17], v[187:188]
	v_mul_f64 v[187:188], v[209:210], s[2:3]
	v_add_f64 v[100:101], v[100:101], v[104:105]
	v_mul_f64 v[104:105], v[175:176], s[18:19]
	v_add_f64 v[90:91], v[203:204], v[90:91]
	v_mul_f64 v[203:204], v[209:210], s[44:45]
	v_add_f64 v[10:11], v[122:123], v[10:11]
	v_add_f64 v[104:105], v[26:27], -v[104:105]
	v_fma_f64 v[215:216], v[199:200], s[42:43], v[203:204]
	v_fma_f64 v[122:123], v[199:200], s[42:43], -v[203:204]
	v_mul_f64 v[203:204], v[161:162], s[26:27]
	v_add_f64 v[88:89], v[215:216], v[88:89]
	v_mul_f64 v[215:216], v[207:208], s[44:45]
	v_add_f64 v[8:9], v[122:123], v[8:9]
	v_add_f64 v[203:204], v[203:204], v[18:19]
	v_fma_f64 v[122:123], v[197:198], s[42:43], v[215:216]
	v_fma_f64 v[217:218], v[197:198], s[42:43], -v[215:216]
	v_add_f64 v[122:123], v[122:123], v[10:11]
	v_fma_f64 v[10:11], v[205:206], s[26:27], -v[219:220]
	v_add_f64 v[217:218], v[217:218], v[90:91]
	v_fma_f64 v[90:91], v[205:206], s[26:27], v[219:220]
	v_add_f64 v[10:11], v[10:11], v[8:9]
	v_add_f64 v[8:9], v[124:125], v[122:123]
	v_mul_f64 v[124:125], v[173:174], s[38:39]
	v_mul_f64 v[122:123], v[165:166], s[2:3]
	v_add_f64 v[90:91], v[90:91], v[88:89]
	v_fma_f64 v[88:89], v[201:202], s[26:27], -v[227:228]
	v_add_f64 v[126:127], v[251:252], -v[124:125]
	v_mul_f64 v[124:125], v[165:166], s[18:19]
	v_add_f64 v[122:123], v[22:23], -v[122:123]
	v_add_f64 v[88:89], v[88:89], v[217:218]
	v_mul_f64 v[217:218], v[167:168], s[20:21]
	v_add_f64 v[4:5], v[126:127], v[4:5]
	v_fma_f64 v[132:133], v[157:158], s[26:27], v[124:125]
	v_fma_f64 v[124:125], v[157:158], s[26:27], -v[124:125]
	v_add_f64 v[122:123], v[122:123], v[110:111]
	v_add_f64 v[217:218], v[217:218], v[20:21]
	;; [unrolled: 1-line block ×3, first 2 shown]
	v_mul_f64 v[132:133], v[249:250], s[18:19]
	v_add_f64 v[124:125], v[124:125], v[245:246]
	v_add_f64 v[104:105], v[104:105], v[122:123]
	v_mul_f64 v[122:123], v[152:153], s[16:17]
	v_add_f64 v[128:129], v[138:139], v[128:129]
	v_fma_f64 v[134:135], v[152:153], s[26:27], -v[132:133]
	v_fma_f64 v[132:133], v[152:153], s[26:27], v[132:133]
	v_mul_f64 v[138:139], v[159:160], s[50:51]
	v_add_f64 v[124:125], v[136:137], v[124:125]
	v_add_f64 v[122:123], v[122:123], v[223:224]
	;; [unrolled: 1-line block ×4, first 2 shown]
	v_fma_f64 v[136:137], v[161:162], s[20:21], v[138:139]
	v_fma_f64 v[140:141], v[161:162], s[20:21], -v[138:139]
	v_add_f64 v[122:123], v[122:123], v[112:113]
	v_mul_f64 v[213:214], v[165:166], s[48:49]
	v_add_f64 v[132:133], v[136:137], v[132:133]
	v_fma_f64 v[136:137], v[171:172], s[30:31], v[6:7]
	v_fma_f64 v[6:7], v[171:172], s[30:31], -v[6:7]
	v_add_f64 v[134:135], v[140:141], v[134:135]
	v_fma_f64 v[215:216], v[157:158], s[40:41], v[213:214]
	v_add_f64 v[122:123], v[203:204], v[122:123]
	v_fma_f64 v[213:214], v[157:158], s[40:41], -v[213:214]
	v_add_f64 v[128:129], v[136:137], v[128:129]
	v_mul_f64 v[136:137], v[169:170], s[36:37]
	v_add_f64 v[6:7], v[6:7], v[124:125]
	v_mul_f64 v[124:125], v[183:184], s[52:53]
	v_add_f64 v[130:131], v[215:216], v[130:131]
	v_add_f64 v[213:214], v[213:214], v[253:254]
	;; [unrolled: 1-line block ×3, first 2 shown]
	v_fma_f64 v[138:139], v[167:168], s[30:31], -v[136:137]
	v_add_f64 v[134:135], v[138:139], v[134:135]
	v_fma_f64 v[138:139], v[181:182], s[8:9], v[124:125]
	v_fma_f64 v[124:125], v[181:182], s[8:9], -v[124:125]
	v_add_f64 v[128:129], v[138:139], v[128:129]
	v_mul_f64 v[138:139], v[179:180], s[52:53]
	v_add_f64 v[6:7], v[124:125], v[6:7]
	v_mul_f64 v[124:125], v[195:196], s[54:55]
	v_fma_f64 v[140:141], v[177:178], s[8:9], -v[138:139]
	v_fma_f64 v[126:127], v[177:178], s[8:9], v[138:139]
	v_mul_f64 v[138:139], v[195:196], s[52:53]
	s_mov_b32 s53, 0x3fc7851a
	s_mov_b32 s52, s2
	v_mul_f64 v[203:204], v[175:176], s[52:53]
	v_add_f64 v[134:135], v[140:141], v[134:135]
	v_fma_f64 v[140:141], v[191:192], s[42:43], v[124:125]
	v_fma_f64 v[124:125], v[191:192], s[42:43], -v[124:125]
	v_add_f64 v[138:139], v[44:45], -v[138:139]
	v_fma_f64 v[219:220], v[163:164], s[16:17], v[203:204]
	v_add_f64 v[128:129], v[140:141], v[128:129]
	v_mul_f64 v[140:141], v[193:194], s[54:55]
	v_add_f64 v[130:131], v[219:220], v[130:131]
	v_mul_f64 v[219:220], v[159:160], s[52:53]
	v_fma_f64 v[142:143], v[189:190], s[42:43], -v[140:141]
	v_fma_f64 v[140:141], v[189:190], s[42:43], v[140:141]
	v_fma_f64 v[223:224], v[161:162], s[16:17], -v[219:220]
	v_add_f64 v[134:135], v[142:143], v[134:135]
	v_add_f64 v[142:143], v[124:125], v[6:7]
	v_fma_f64 v[6:7], v[199:200], s[16:17], v[187:188]
	v_add_f64 v[6:7], v[6:7], v[128:129]
	v_mul_f64 v[128:129], v[207:208], s[2:3]
	v_fma_f64 v[124:125], v[197:198], s[16:17], -v[128:129]
	v_add_f64 v[124:125], v[124:125], v[134:135]
	v_fma_f64 v[134:135], v[167:168], s[30:31], v[136:137]
	v_mul_f64 v[136:137], v[161:162], s[42:43]
	v_add_f64 v[132:133], v[134:135], v[132:133]
	v_add_f64 v[136:137], v[136:137], v[40:41]
	v_fma_f64 v[134:135], v[199:200], s[16:17], -v[187:188]
	v_mul_f64 v[187:188], v[167:168], s[28:29]
	v_add_f64 v[126:127], v[126:127], v[132:133]
	v_add_f64 v[100:101], v[136:137], v[100:101]
	v_mul_f64 v[136:137], v[173:174], s[24:25]
	v_add_f64 v[134:135], v[134:135], v[142:143]
	v_mul_f64 v[142:143], v[183:184], s[2:3]
	;; [unrolled: 2-line block ×4, first 2 shown]
	v_add_f64 v[136:137], v[16:17], -v[136:137]
	s_clause 0x1
	buffer_load_dword v16, off, s[60:63], 0 offset:300
	buffer_load_dword v17, off, s[60:63], 0 offset:304
	v_add_f64 v[142:143], v[46:47], -v[142:143]
	v_add_f64 v[100:101], v[187:188], v[100:101]
	v_mul_f64 v[187:188], v[183:184], s[38:39]
	v_add_f64 v[132:133], v[48:49], -v[132:133]
	v_add_f64 v[140:141], v[50:51], -v[140:141]
	v_add_f64 v[104:105], v[136:137], v[104:105]
	v_mul_f64 v[136:137], v[249:250], s[48:49]
	v_add_f64 v[4:5], v[142:143], v[4:5]
	v_mul_f64 v[142:143], v[177:178], s[16:17]
	v_add_f64 v[187:188], v[30:31], -v[187:188]
	v_fma_f64 v[215:216], v[152:153], s[40:41], -v[136:137]
	v_add_f64 v[4:5], v[138:139], v[4:5]
	v_add_f64 v[142:143], v[142:143], v[36:37]
	v_mul_f64 v[138:139], v[189:190], s[8:9]
	v_add_f64 v[104:105], v[187:188], v[104:105]
	v_fma_f64 v[187:188], v[163:164], s[16:17], -v[203:204]
	v_mul_f64 v[203:204], v[177:178], s[28:29]
	v_add_f64 v[215:216], v[215:216], v[237:238]
	v_add_f64 v[132:133], v[132:133], v[4:5]
	;; [unrolled: 1-line block ×4, first 2 shown]
	v_mul_f64 v[4:5], v[197:198], s[20:21]
	v_add_f64 v[187:188], v[187:188], v[213:214]
	v_mul_f64 v[213:214], v[173:174], s[18:19]
	v_mul_f64 v[142:143], v[195:196], s[36:37]
	v_add_f64 v[203:204], v[203:204], v[24:25]
	v_add_f64 v[215:216], v[223:224], v[215:216]
	v_mul_f64 v[223:224], v[169:170], s[18:19]
	v_add_f64 v[138:139], v[138:139], v[100:101]
	v_fma_f64 v[100:101], v[152:153], s[40:41], v[136:137]
	v_fma_f64 v[217:218], v[171:172], s[26:27], v[213:214]
	v_add_f64 v[142:143], v[32:33], -v[142:143]
	v_add_f64 v[122:123], v[203:204], v[122:123]
	v_mul_f64 v[203:204], v[183:184], s[44:45]
	v_add_f64 v[136:137], v[100:101], v[225:226]
	v_mul_f64 v[100:101], v[209:210], s[46:47]
	v_add_f64 v[130:131], v[217:218], v[130:131]
	v_add_f64 v[104:105], v[142:143], v[104:105]
	v_add_f64 v[217:218], v[34:35], -v[100:101]
	v_fma_f64 v[100:101], v[167:168], s[26:27], -v[223:224]
	v_add_f64 v[215:216], v[100:101], v[215:216]
	v_fma_f64 v[100:101], v[197:198], s[16:17], v[128:129]
	v_fma_f64 v[128:129], v[171:172], s[26:27], -v[213:214]
	v_add_f64 v[126:127], v[100:101], v[126:127]
	v_add_f64 v[142:143], v[128:129], v[187:188]
	v_mul_f64 v[128:129], v[189:190], s[30:31]
	v_mul_f64 v[100:101], v[201:202], s[40:41]
	v_add_f64 v[187:188], v[128:129], v[28:29]
	v_fma_f64 v[128:129], v[181:182], s[42:43], v[203:204]
	v_fma_f64 v[203:204], v[181:182], s[42:43], -v[203:204]
	v_add_f64 v[100:101], v[100:101], v[102:103]
	v_add_f64 v[122:123], v[187:188], v[122:123]
	;; [unrolled: 1-line block ×3, first 2 shown]
	v_mul_f64 v[187:188], v[195:196], s[50:51]
	v_add_f64 v[142:143], v[203:204], v[142:143]
	v_mul_f64 v[203:204], v[197:198], s[40:41]
	v_add_f64 v[203:204], v[203:204], v[108:109]
	s_waitcnt vmcnt(0)
	v_add_f64 v[4:5], v[4:5], v[16:17]
	s_clause 0x1
	buffer_load_dword v16, off, s[60:63], 0 offset:276
	buffer_load_dword v17, off, s[60:63], 0 offset:280
	v_add_f64 v[128:129], v[4:5], v[138:139]
	v_fma_f64 v[4:5], v[161:162], s[16:17], v[219:220]
	v_add_f64 v[100:101], v[100:101], v[128:129]
	v_add_f64 v[4:5], v[4:5], v[136:137]
	v_mul_f64 v[136:137], v[221:222], s[44:45]
	v_add_f64 v[213:214], v[106:107], -v[136:137]
	v_mul_f64 v[136:137], v[179:180], s[44:45]
	v_fma_f64 v[138:139], v[177:178], s[42:43], -v[136:137]
	v_fma_f64 v[136:137], v[177:178], s[42:43], v[136:137]
	v_add_f64 v[138:139], v[138:139], v[215:216]
	v_add_f64 v[215:216], v[217:218], v[104:105]
	v_fma_f64 v[217:218], v[191:192], s[20:21], v[187:188]
	v_fma_f64 v[187:188], v[191:192], s[20:21], -v[187:188]
	v_mul_f64 v[104:105], v[201:202], s[42:43]
	v_add_f64 v[130:131], v[217:218], v[130:131]
	v_fma_f64 v[217:218], v[167:168], s[26:27], v[223:224]
	v_add_f64 v[142:143], v[187:188], v[142:143]
	v_fma_f64 v[223:224], v[152:153], s[42:43], v[154:155]
	v_add_f64 v[104:105], v[104:105], v[98:99]
	v_add_f64 v[4:5], v[217:218], v[4:5]
	v_mul_f64 v[217:218], v[193:194], s[50:51]
	v_add_f64 v[4:5], v[136:137], v[4:5]
	v_mul_f64 v[136:137], v[165:166], s[10:11]
	v_mul_f64 v[165:166], v[165:166], s[54:55]
	v_fma_f64 v[219:220], v[189:190], s[20:21], -v[217:218]
	v_fma_f64 v[187:188], v[157:158], s[8:9], -v[136:137]
	v_fma_f64 v[136:137], v[157:158], s[8:9], v[136:137]
	v_add_f64 v[138:139], v[219:220], v[138:139]
	v_add_f64 v[118:119], v[187:188], v[118:119]
	v_fma_f64 v[187:188], v[157:158], s[42:43], -v[165:166]
	v_fma_f64 v[157:158], v[157:158], s[42:43], v[165:166]
	v_mul_f64 v[165:166], v[249:250], s[10:11]
	v_fma_f64 v[219:220], v[152:153], s[8:9], v[165:166]
	v_fma_f64 v[165:166], v[152:153], s[8:9], -v[165:166]
	v_fma_f64 v[152:153], v[152:153], s[42:43], -v[154:155]
	v_add_f64 v[116:117], v[219:220], v[116:117]
	v_add_f64 v[114:115], v[165:166], v[114:115]
	s_waitcnt vmcnt(0)
	v_add_f64 v[108:109], v[187:188], v[16:17]
	s_clause 0x1
	buffer_load_dword v16, off, s[60:63], 0 offset:284
	buffer_load_dword v17, off, s[60:63], 0 offset:288
	v_mul_f64 v[187:188], v[211:212], s[2:3]
	s_waitcnt vmcnt(0)
	v_add_f64 v[110:111], v[223:224], v[16:17]
	s_clause 0x1
	buffer_load_dword v16, off, s[60:63], 0 offset:292
	buffer_load_dword v17, off, s[60:63], 0 offset:296
	s_waitcnt vmcnt(0)
	v_add_f64 v[112:113], v[136:137], v[16:17]
	s_clause 0x1
	buffer_load_dword v16, off, s[60:63], 0 offset:268
	buffer_load_dword v17, off, s[60:63], 0 offset:272
	v_mul_f64 v[136:137], v[175:176], s[48:49]
	v_fma_f64 v[154:155], v[163:164], s[40:41], -v[136:137]
	v_fma_f64 v[136:137], v[163:164], s[40:41], v[136:137]
	v_add_f64 v[118:119], v[154:155], v[118:119]
	v_mul_f64 v[154:155], v[175:176], s[38:39]
	v_add_f64 v[112:113], v[136:137], v[112:113]
	v_mul_f64 v[136:137], v[173:174], s[2:3]
	v_fma_f64 v[165:166], v[163:164], s[28:29], -v[154:155]
	v_fma_f64 v[154:155], v[163:164], s[28:29], v[154:155]
	v_add_f64 v[108:109], v[165:166], v[108:109]
	s_waitcnt vmcnt(0)
	v_add_f64 v[106:107], v[157:158], v[16:17]
	s_clause 0x1
	buffer_load_dword v16, off, s[60:63], 0 offset:260
	buffer_load_dword v17, off, s[60:63], 0 offset:264
	v_mul_f64 v[157:158], v[159:160], s[48:49]
	v_mul_f64 v[159:160], v[159:160], s[38:39]
	v_add_f64 v[106:107], v[154:155], v[106:107]
	v_mul_f64 v[154:155], v[169:170], s[2:3]
	v_fma_f64 v[163:164], v[161:162], s[40:41], v[157:158]
	v_fma_f64 v[157:158], v[161:162], s[40:41], -v[157:158]
	v_fma_f64 v[175:176], v[161:162], s[28:29], v[159:160]
	v_fma_f64 v[159:160], v[161:162], s[28:29], -v[159:160]
	v_mul_f64 v[161:162], v[169:170], s[10:11]
	v_add_f64 v[116:117], v[163:164], v[116:117]
	v_add_f64 v[114:115], v[157:158], v[114:115]
	v_fma_f64 v[163:164], v[167:168], s[16:17], v[154:155]
	v_fma_f64 v[154:155], v[167:168], s[16:17], -v[154:155]
	v_add_f64 v[110:111], v[175:176], v[110:111]
	v_fma_f64 v[165:166], v[167:168], s[8:9], v[161:162]
	v_fma_f64 v[161:162], v[167:168], s[8:9], -v[161:162]
	v_mul_f64 v[167:168], v[193:194], s[18:19]
	v_add_f64 v[116:117], v[163:164], v[116:117]
	v_add_f64 v[114:115], v[154:155], v[114:115]
	;; [unrolled: 1-line block ×3, first 2 shown]
	s_waitcnt vmcnt(0)
	v_add_f64 v[102:103], v[152:153], v[16:17]
	v_fma_f64 v[152:153], v[171:172], s[16:17], -v[136:137]
	v_fma_f64 v[136:137], v[171:172], s[16:17], v[136:137]
	v_add_f64 v[102:103], v[159:160], v[102:103]
	v_add_f64 v[118:119], v[152:153], v[118:119]
	;; [unrolled: 1-line block ×3, first 2 shown]
	v_mul_f64 v[136:137], v[183:184], s[34:35]
	v_mul_f64 v[152:153], v[173:174], s[10:11]
	;; [unrolled: 1-line block ×4, first 2 shown]
	v_add_f64 v[102:103], v[161:162], v[102:103]
	v_fma_f64 v[154:155], v[181:182], s[30:31], -v[136:137]
	v_fma_f64 v[157:158], v[171:172], s[8:9], -v[152:153]
	v_fma_f64 v[152:153], v[171:172], s[8:9], v[152:153]
	v_fma_f64 v[165:166], v[177:178], s[26:27], v[159:160]
	v_fma_f64 v[136:137], v[181:182], s[30:31], v[136:137]
	v_fma_f64 v[159:160], v[177:178], s[26:27], -v[159:160]
	v_fma_f64 v[171:172], v[189:190], s[20:21], v[217:218]
	v_add_f64 v[118:119], v[154:155], v[118:119]
	v_mul_f64 v[154:155], v[183:184], s[22:23]
	v_add_f64 v[108:109], v[157:158], v[108:109]
	v_add_f64 v[106:107], v[152:153], v[106:107]
	v_mul_f64 v[152:153], v[179:180], s[34:35]
	v_add_f64 v[110:111], v[165:166], v[110:111]
	v_mul_f64 v[165:166], v[195:196], s[48:49]
	;; [unrolled: 2-line block ×4, first 2 shown]
	v_add_f64 v[4:5], v[171:172], v[4:5]
	v_fma_f64 v[171:172], v[199:200], s[30:31], -v[173:174]
	v_mul_f64 v[183:184], v[221:222], s[2:3]
	v_mul_f64 v[179:180], v[211:212], s[36:37]
	v_fma_f64 v[157:158], v[181:182], s[26:27], -v[154:155]
	v_fma_f64 v[154:155], v[181:182], s[26:27], v[154:155]
	v_mul_f64 v[181:182], v[221:222], s[24:25]
	v_fma_f64 v[163:164], v[177:178], s[30:31], v[152:153]
	v_fma_f64 v[152:153], v[177:178], s[30:31], -v[152:153]
	v_mul_f64 v[177:178], v[207:208], s[56:57]
	v_fma_f64 v[175:176], v[199:200], s[8:9], -v[136:137]
	v_fma_f64 v[136:137], v[199:200], s[8:9], v[136:137]
	v_add_f64 v[108:109], v[157:158], v[108:109]
	v_mul_f64 v[157:158], v[195:196], s[18:19]
	v_add_f64 v[106:107], v[154:155], v[106:107]
	v_add_f64 v[116:117], v[163:164], v[116:117]
	;; [unrolled: 1-line block ×3, first 2 shown]
	v_mul_f64 v[152:153], v[209:210], s[56:57]
	v_fma_f64 v[154:155], v[189:190], s[26:27], v[167:168]
	v_fma_f64 v[167:168], v[189:190], s[26:27], -v[167:168]
	v_mul_f64 v[163:164], v[193:194], s[48:49]
	v_add_f64 v[175:176], v[175:176], v[142:143]
	v_mul_f64 v[142:143], v[221:222], s[36:37]
	v_fma_f64 v[195:196], v[201:202], s[30:31], v[179:180]
	v_fma_f64 v[161:162], v[191:192], s[26:27], -v[157:158]
	v_fma_f64 v[157:158], v[191:192], s[26:27], v[157:158]
	v_add_f64 v[116:117], v[154:155], v[116:117]
	v_add_f64 v[114:115], v[167:168], v[114:115]
	v_fma_f64 v[167:168], v[199:200], s[30:31], v[173:174]
	v_fma_f64 v[173:174], v[197:198], s[28:29], v[177:178]
	v_fma_f64 v[177:178], v[197:198], s[28:29], -v[177:178]
	v_fma_f64 v[169:170], v[189:190], s[40:41], v[163:164]
	v_fma_f64 v[163:164], v[189:190], s[40:41], -v[163:164]
	v_mul_f64 v[154:155], v[221:222], s[56:57]
	v_add_f64 v[118:119], v[161:162], v[118:119]
	v_fma_f64 v[161:162], v[191:192], s[40:41], -v[165:166]
	v_add_f64 v[112:113], v[157:158], v[112:113]
	v_fma_f64 v[157:158], v[197:198], s[8:9], -v[159:160]
	v_fma_f64 v[165:166], v[191:192], s[40:41], v[165:166]
	v_mul_f64 v[191:192], v[211:212], s[24:25]
	v_fma_f64 v[159:160], v[197:198], s[8:9], v[159:160]
	v_add_f64 v[173:174], v[173:174], v[116:117]
	v_fma_f64 v[116:117], v[205:206], s[20:21], -v[181:182]
	v_add_f64 v[110:111], v[169:170], v[110:111]
	v_mul_f64 v[169:170], v[207:208], s[36:37]
	v_add_f64 v[189:190], v[163:164], v[102:103]
	v_mul_f64 v[102:103], v[211:212], s[56:57]
	v_fma_f64 v[163:164], v[205:206], s[28:29], v[154:155]
	v_add_f64 v[108:109], v[161:162], v[108:109]
	v_fma_f64 v[161:162], v[199:200], s[28:29], -v[152:153]
	v_fma_f64 v[152:153], v[199:200], s[28:29], v[152:153]
	v_add_f64 v[199:200], v[203:204], v[122:123]
	v_fma_f64 v[122:123], v[205:206], s[16:17], -v[183:184]
	v_add_f64 v[157:158], v[157:158], v[138:139]
	v_fma_f64 v[203:204], v[201:202], s[16:17], v[187:188]
	v_fma_f64 v[207:208], v[201:202], s[20:21], v[191:192]
	v_add_f64 v[106:107], v[165:166], v[106:107]
	v_fma_f64 v[165:166], v[201:202], s[28:29], -v[102:103]
	v_add_f64 v[108:109], v[171:172], v[108:109]
	v_add_f64 v[118:119], v[161:162], v[118:119]
	;; [unrolled: 1-line block ×4, first 2 shown]
	v_fma_f64 v[161:162], v[197:198], s[30:31], v[169:170]
	v_fma_f64 v[171:172], v[205:206], s[28:29], -v[154:155]
	v_fma_f64 v[169:170], v[197:198], s[30:31], -v[169:170]
	v_add_f64 v[197:198], v[159:160], v[4:5]
	v_add_f64 v[112:113], v[207:208], v[173:174]
	;; [unrolled: 1-line block ×4, first 2 shown]
	v_fma_f64 v[159:160], v[205:206], s[30:31], v[142:143]
	v_fma_f64 v[130:131], v[205:206], s[16:17], v[183:184]
	v_add_f64 v[124:125], v[165:166], v[124:125]
	v_add_f64 v[114:115], v[116:117], v[118:119]
	v_add_f64 v[118:119], v[122:123], v[108:109]
	v_add_f64 v[122:123], v[120:121], v[2:3]
	v_add_f64 v[120:121], v[185:186], v[0:1]
	s_clause 0x1
	buffer_load_dword v0, off, s[60:63], 0
	buffer_load_dword v1, off, s[60:63], 0 offset:4
	v_add_f64 v[193:194], v[161:162], v[110:111]
	v_fma_f64 v[110:111], v[205:206], s[30:31], -v[142:143]
	v_add_f64 v[4:5], v[171:172], v[134:135]
	v_fma_f64 v[171:172], v[201:202], s[28:29], v[102:103]
	v_add_f64 v[108:109], v[195:196], v[197:198]
	v_add_f64 v[102:103], v[140:141], v[132:133]
	;; [unrolled: 1-line block ×4, first 2 shown]
	v_fma_f64 v[161:162], v[201:202], s[30:31], -v[179:180]
	v_fma_f64 v[140:141], v[205:206], s[20:21], v[181:182]
	v_fma_f64 v[142:143], v[201:202], s[20:21], -v[191:192]
	v_fma_f64 v[134:135], v[201:202], s[16:17], -v[187:188]
	v_add_f64 v[136:137], v[169:170], v[189:190]
	v_add_f64 v[159:160], v[159:160], v[154:155]
	;; [unrolled: 1-line block ×11, first 2 shown]
	s_waitcnt vmcnt(1)
	v_mul_lo_u16 v0, v0, 17
	v_and_b32_e32 v0, 0xffff, v0
	s_waitcnt vmcnt(0)
	v_lshl_add_u32 v0, v0, 4, v1
	ds_write_b128 v0, v[120:123]
	ds_write_b128 v0, v[116:119] offset:16
	ds_write_b128 v0, v[112:115] offset:32
	;; [unrolled: 1-line block ×8, first 2 shown]
	s_clause 0x3
	buffer_load_dword v1, off, s[60:63], 0 offset:244
	buffer_load_dword v2, off, s[60:63], 0 offset:248
	;; [unrolled: 1-line block ×4, first 2 shown]
	s_waitcnt vmcnt(0)
	ds_write_b128 v0, v[1:4] offset:144
	ds_write_b128 v0, v[88:91] offset:160
	;; [unrolled: 1-line block ×8, first 2 shown]
.LBB0_17:
	s_or_b32 exec_lo, exec_lo, s1
	s_waitcnt lgkmcnt(0)
	s_waitcnt_vscnt null, 0x0
	s_barrier
	buffer_gl0_inv
	ds_read_b128 v[4:7], v235
	ds_read_b128 v[8:11], v235 offset:544
	ds_read_b128 v[104:107], v235 offset:3536
	;; [unrolled: 1-line block ×11, first 2 shown]
	s_and_saveexec_b32 s1, s0
	s_cbranch_execz .LBB0_19
; %bb.18:
	ds_read_b128 v[148:151], v235 offset:3264
	ds_read_b128 v[144:147], v235 offset:6800
.LBB0_19:
	s_or_b32 exec_lo, exec_lo, s1
	s_waitcnt lgkmcnt(9)
	v_mul_f64 v[124:125], v[66:67], v[106:107]
	v_mul_f64 v[66:67], v[66:67], v[104:105]
	s_waitcnt lgkmcnt(8)
	v_mul_f64 v[126:127], v[62:63], v[102:103]
	v_mul_f64 v[62:63], v[62:63], v[100:101]
	s_waitcnt lgkmcnt(0)
	s_barrier
	buffer_gl0_inv
	v_mul_f64 v[128:129], v[78:79], v[114:115]
	v_mul_f64 v[78:79], v[78:79], v[112:113]
	v_mul_f64 v[130:131], v[82:83], v[110:111]
	v_mul_f64 v[82:83], v[82:83], v[108:109]
	v_mul_f64 v[132:133], v[70:71], v[122:123]
	v_mul_f64 v[70:71], v[70:71], v[120:121]
	v_mul_f64 v[134:135], v[74:75], v[118:119]
	v_mul_f64 v[74:75], v[74:75], v[116:117]
	v_fma_f64 v[104:105], v[64:65], v[104:105], v[124:125]
	v_fma_f64 v[64:65], v[64:65], v[106:107], -v[66:67]
	v_fma_f64 v[66:67], v[60:61], v[100:101], v[126:127]
	v_fma_f64 v[100:101], v[60:61], v[102:103], -v[62:63]
	;; [unrolled: 2-line block ×6, first 2 shown]
	v_add_f64 v[60:61], v[4:5], -v[104:105]
	v_add_f64 v[62:63], v[6:7], -v[64:65]
	;; [unrolled: 1-line block ×4, first 2 shown]
	buffer_load_dword v100, off, s[60:63], 0 offset:16 ; 4-byte Folded Reload
	v_add_f64 v[68:69], v[88:89], -v[102:103]
	v_add_f64 v[70:71], v[90:91], -v[76:77]
	v_add_f64 v[72:73], v[92:93], -v[78:79]
	v_add_f64 v[74:75], v[94:95], -v[80:81]
	v_add_f64 v[76:77], v[96:97], -v[82:83]
	v_add_f64 v[78:79], v[98:99], -v[106:107]
	v_add_f64 v[80:81], v[0:1], -v[108:109]
	v_add_f64 v[82:83], v[2:3], -v[110:111]
	v_fma_f64 v[4:5], v[4:5], 2.0, -v[60:61]
	v_fma_f64 v[6:7], v[6:7], 2.0, -v[62:63]
	;; [unrolled: 1-line block ×4, first 2 shown]
	s_waitcnt vmcnt(0)
	ds_write_b128 v100, v[60:63] offset:272
	ds_write_b128 v100, v[4:7]
	buffer_load_dword v4, off, s[60:63], 0 offset:56 ; 4-byte Folded Reload
	v_fma_f64 v[88:89], v[88:89], 2.0, -v[68:69]
	v_fma_f64 v[90:91], v[90:91], 2.0, -v[70:71]
	;; [unrolled: 1-line block ×8, first 2 shown]
	s_waitcnt vmcnt(0)
	ds_write_b128 v4, v[8:11]
	ds_write_b128 v4, v[64:67] offset:272
	buffer_load_dword v4, off, s[60:63], 0 offset:48 ; 4-byte Folded Reload
	s_waitcnt vmcnt(0)
	ds_write_b128 v4, v[88:91]
	ds_write_b128 v4, v[68:71] offset:272
	buffer_load_dword v4, off, s[60:63], 0 offset:40 ; 4-byte Folded Reload
	;; [unrolled: 4-line block ×4, first 2 shown]
	s_waitcnt vmcnt(0)
	ds_write_b128 v4, v[0:3]
	ds_write_b128 v4, v[80:83] offset:272
	s_and_saveexec_b32 s1, s0
	s_cbranch_execz .LBB0_21
; %bb.20:
	s_clause 0x1
	buffer_load_dword v8, off, s[60:63], 0 offset:4
	buffer_load_dword v9, off, s[60:63], 0 offset:8
	v_mul_f64 v[0:1], v[14:15], v[144:145]
	v_mul_f64 v[2:3], v[14:15], v[146:147]
	v_fma_f64 v[0:1], v[12:13], v[146:147], -v[0:1]
	v_fma_f64 v[4:5], v[12:13], v[144:145], v[2:3]
	v_add_f64 v[2:3], v[150:151], -v[0:1]
	v_add_f64 v[0:1], v[148:149], -v[4:5]
	v_fma_f64 v[6:7], v[150:151], 2.0, -v[2:3]
	v_fma_f64 v[4:5], v[148:149], 2.0, -v[0:1]
	s_waitcnt vmcnt(0)
	v_lshl_add_u32 v8, v9, 4, v8
	ds_write_b128 v8, v[4:7] offset:6528
	ds_write_b128 v8, v[0:3] offset:6800
.LBB0_21:
	s_or_b32 exec_lo, exec_lo, s1
	s_waitcnt lgkmcnt(0)
	s_barrier
	buffer_gl0_inv
	ds_read_b128 v[4:7], v235 offset:544
	ds_read_b128 v[0:3], v235
	ds_read_b128 v[8:11], v235 offset:1088
	ds_read_b128 v[12:15], v235 offset:1632
	;; [unrolled: 1-line block ×11, first 2 shown]
	s_clause 0x23
	buffer_load_dword v20, off, s[60:63], 0 offset:224
	buffer_load_dword v21, off, s[60:63], 0 offset:228
	;; [unrolled: 1-line block ×36, first 2 shown]
	s_mov_b32 s2, 0x4267c47c
	s_mov_b32 s20, 0x66966769
	;; [unrolled: 1-line block ×36, first 2 shown]
	s_waitcnt vmcnt(32) lgkmcnt(12)
	v_mul_f64 v[100:101], v[22:23], v[6:7]
	v_mul_f64 v[58:59], v[22:23], v[4:5]
	s_waitcnt vmcnt(28) lgkmcnt(10)
	v_mul_f64 v[102:103], v[18:19], v[10:11]
	v_mul_f64 v[42:43], v[18:19], v[8:9]
	;; [unrolled: 3-line block ×3, first 2 shown]
	s_waitcnt vmcnt(12) lgkmcnt(7)
	v_mul_f64 v[104:105], v[30:31], v[66:67]
	s_waitcnt vmcnt(8) lgkmcnt(2)
	v_mul_f64 v[106:107], v[50:51], v[90:91]
	v_mul_f64 v[50:51], v[50:51], v[88:89]
	;; [unrolled: 1-line block ×3, first 2 shown]
	s_waitcnt vmcnt(0)
	v_mul_f64 v[110:111], v[46:47], v[82:83]
	v_mul_f64 v[46:47], v[46:47], v[80:81]
	;; [unrolled: 1-line block ×4, first 2 shown]
	v_fma_f64 v[100:101], v[20:21], v[4:5], v[100:101]
	v_fma_f64 v[6:7], v[20:21], v[6:7], -v[58:59]
	s_clause 0x3
	buffer_load_dword v20, off, s[60:63], 0 offset:80
	buffer_load_dword v21, off, s[60:63], 0 offset:84
	buffer_load_dword v22, off, s[60:63], 0 offset:88
	buffer_load_dword v23, off, s[60:63], 0 offset:92
	s_waitcnt lgkmcnt(0)
	v_mul_f64 v[4:5], v[86:87], v[96:97]
	v_mul_f64 v[58:59], v[86:87], v[98:99]
	v_fma_f64 v[86:87], v[16:17], v[8:9], v[102:103]
	v_fma_f64 v[40:41], v[16:17], v[10:11], -v[42:43]
	s_clause 0x3
	buffer_load_dword v16, off, s[60:63], 0 offset:64
	buffer_load_dword v17, off, s[60:63], 0 offset:68
	;; [unrolled: 1-line block ×4, first 2 shown]
	v_mul_f64 v[42:43], v[34:35], v[62:63]
	v_fma_f64 v[12:13], v[36:37], v[12:13], v[56:57]
	v_fma_f64 v[14:15], v[36:37], v[14:15], -v[38:39]
	v_mul_f64 v[34:35], v[34:35], v[60:61]
	v_mul_f64 v[102:103], v[54:55], v[94:95]
	;; [unrolled: 1-line block ×3, first 2 shown]
	v_add_f64 v[8:9], v[0:1], v[100:101]
	v_add_f64 v[10:11], v[2:3], v[6:7]
	v_fma_f64 v[98:99], v[84:85], v[98:99], -v[4:5]
	v_fma_f64 v[4:5], v[24:25], v[68:69], v[108:109]
	v_fma_f64 v[36:37], v[84:85], v[96:97], v[58:59]
	;; [unrolled: 1-line block ×3, first 2 shown]
	v_fma_f64 v[32:33], v[32:33], v[62:63], -v[34:35]
	v_fma_f64 v[34:35], v[48:49], v[88:89], v[106:107]
	v_fma_f64 v[48:49], v[48:49], v[90:91], -v[50:51]
	v_fma_f64 v[50:51], v[28:29], v[64:65], v[104:105]
	;; [unrolled: 2-line block ×4, first 2 shown]
	v_fma_f64 v[52:53], v[52:53], v[94:95], -v[54:55]
	v_add_f64 v[38:39], v[8:9], v[86:87]
	v_add_f64 v[56:57], v[10:11], v[40:41]
	v_fma_f64 v[8:9], v[24:25], v[70:71], -v[26:27]
	v_add_f64 v[24:25], v[6:7], -v[98:99]
	v_add_f64 v[26:27], v[6:7], v[98:99]
	v_add_f64 v[46:47], v[100:101], -v[36:37]
	v_add_f64 v[62:63], v[12:13], v[34:35]
	v_add_f64 v[64:65], v[14:15], v[48:49]
	;; [unrolled: 1-line block ×5, first 2 shown]
	v_add_f64 v[60:61], v[86:87], -v[58:59]
	v_add_f64 v[70:71], v[42:43], -v[30:31]
	v_mul_f64 v[82:83], v[24:25], s[20:21]
	v_mul_f64 v[80:81], v[26:27], s[18:19]
	;; [unrolled: 1-line block ×10, first 2 shown]
	v_fma_f64 v[144:145], v[46:47], s[10:11], v[80:81]
	v_fma_f64 v[80:81], v[46:47], s[16:17], v[80:81]
	;; [unrolled: 1-line block ×6, first 2 shown]
	v_add_f64 v[144:145], v[2:3], v[144:145]
	v_add_f64 v[80:81], v[2:3], v[80:81]
	;; [unrolled: 1-line block ×5, first 2 shown]
	s_waitcnt vmcnt(4)
	v_mul_f64 v[112:113], v[22:23], v[74:75]
	v_mul_f64 v[22:23], v[22:23], v[72:73]
	s_waitcnt vmcnt(0)
	v_mul_f64 v[114:115], v[18:19], v[78:79]
	v_mul_f64 v[18:19], v[18:19], v[76:77]
	v_fma_f64 v[6:7], v[20:21], v[72:73], v[112:113]
	v_fma_f64 v[10:11], v[20:21], v[74:75], -v[22:23]
	v_add_f64 v[22:23], v[38:39], v[12:13]
	v_add_f64 v[38:39], v[56:57], v[14:15]
	v_add_f64 v[72:73], v[32:33], -v[44:45]
	v_fma_f64 v[20:21], v[16:17], v[76:77], v[114:115]
	v_fma_f64 v[16:17], v[16:17], v[78:79], -v[18:19]
	v_add_f64 v[18:19], v[100:101], v[36:37]
	v_add_f64 v[56:57], v[40:41], v[52:53]
	v_add_f64 v[40:41], v[40:41], -v[52:53]
	v_mul_f64 v[74:75], v[24:25], s[2:3]
	v_mul_f64 v[76:77], v[26:27], s[8:9]
	;; [unrolled: 1-line block ×3, first 2 shown]
	v_add_f64 v[14:15], v[14:15], -v[48:49]
	v_add_f64 v[12:13], v[12:13], -v[34:35]
	v_mul_f64 v[114:115], v[64:65], s[22:23]
	v_mul_f64 v[64:65], v[64:65], s[38:39]
	v_add_f64 v[22:23], v[22:23], v[42:43]
	v_add_f64 v[32:33], v[38:39], v[32:33]
	v_mul_f64 v[38:39], v[26:27], s[28:29]
	v_mul_f64 v[42:43], v[24:25], s[30:31]
	;; [unrolled: 1-line block ×4, first 2 shown]
	v_fma_f64 v[146:147], v[18:19], s[22:23], v[82:83]
	v_mul_f64 v[90:91], v[40:41], s[16:17]
	v_mul_f64 v[100:101], v[40:41], s[36:37]
	v_fma_f64 v[138:139], v[18:19], s[8:9], v[74:75]
	v_fma_f64 v[82:83], v[18:19], s[22:23], -v[82:83]
	v_mul_f64 v[92:93], v[56:57], s[18:19]
	v_mul_f64 v[94:95], v[40:41], s[26:27]
	;; [unrolled: 1-line block ×10, first 2 shown]
	v_fma_f64 v[140:141], v[46:47], s[0:1], v[76:77]
	v_add_f64 v[22:23], v[22:23], v[50:51]
	v_add_f64 v[32:33], v[32:33], v[28:29]
	v_fma_f64 v[74:75], v[18:19], s[8:9], -v[74:75]
	v_fma_f64 v[76:77], v[46:47], s[2:3], v[76:77]
	v_fma_f64 v[142:143], v[18:19], s[18:19], v[78:79]
	v_fma_f64 v[78:79], v[18:19], s[18:19], -v[78:79]
	v_fma_f64 v[150:151], v[18:19], s[28:29], v[86:87]
	v_fma_f64 v[152:153], v[46:47], s[34:35], v[38:39]
	v_fma_f64 v[86:87], v[18:19], s[28:29], -v[86:87]
	v_fma_f64 v[154:155], v[18:19], s[38:39], v[42:43]
	v_fma_f64 v[42:43], v[18:19], s[38:39], -v[42:43]
	v_fma_f64 v[159:160], v[18:19], s[42:43], v[24:25]
	v_fma_f64 v[161:162], v[46:47], s[44:45], v[26:27]
	v_fma_f64 v[18:19], v[18:19], s[42:43], -v[24:25]
	v_mul_f64 v[112:113], v[14:15], s[20:21]
	v_mul_f64 v[120:121], v[14:15], s[34:35]
	v_fma_f64 v[38:39], v[46:47], s[26:27], v[38:39]
	v_fma_f64 v[24:25], v[46:47], s[36:37], v[26:27]
	v_fma_f64 v[26:27], v[54:55], s[18:19], v[90:91]
	v_fma_f64 v[167:168], v[54:55], s[42:43], v[100:101]
	v_fma_f64 v[100:101], v[54:55], s[42:43], -v[100:101]
	v_add_f64 v[138:139], v[0:1], v[138:139]
	v_add_f64 v[22:23], v[22:23], v[4:5]
	;; [unrolled: 1-line block ×4, first 2 shown]
	v_mul_f64 v[116:117], v[14:15], s[36:37]
	v_mul_f64 v[124:125], v[14:15], s[0:1]
	v_mul_f64 v[128:129], v[14:15], s[16:17]
	v_mul_f64 v[14:15], v[14:15], s[30:31]
	v_fma_f64 v[46:47], v[60:61], s[10:11], v[92:93]
	v_fma_f64 v[90:91], v[54:55], s[18:19], -v[90:91]
	v_fma_f64 v[92:93], v[60:61], s[16:17], v[92:93]
	v_fma_f64 v[163:164], v[54:55], s[28:29], v[94:95]
	;; [unrolled: 1-line block ×3, first 2 shown]
	v_fma_f64 v[94:95], v[54:55], s[28:29], -v[94:95]
	v_fma_f64 v[96:97], v[60:61], s[26:27], v[96:97]
	v_fma_f64 v[169:170], v[60:61], s[44:45], v[102:103]
	;; [unrolled: 1-line block ×7, first 2 shown]
	v_fma_f64 v[40:41], v[54:55], s[8:9], -v[40:41]
	v_add_f64 v[140:141], v[2:3], v[140:141]
	v_add_f64 v[22:23], v[22:23], v[6:7]
	;; [unrolled: 1-line block ×12, first 2 shown]
	v_mul_f64 v[132:133], v[72:73], s[26:27]
	v_fma_f64 v[104:105], v[54:55], s[38:39], -v[104:105]
	v_fma_f64 v[175:176], v[54:55], s[22:23], v[108:109]
	v_fma_f64 v[108:109], v[54:55], s[22:23], -v[108:109]
	v_fma_f64 v[54:55], v[60:61], s[0:1], v[56:57]
	v_fma_f64 v[56:57], v[62:63], s[22:23], v[112:113]
	;; [unrolled: 1-line block ×3, first 2 shown]
	v_fma_f64 v[120:121], v[62:63], s[28:29], -v[120:121]
	v_add_f64 v[38:39], v[2:3], v[38:39]
	v_add_f64 v[82:83], v[100:101], v[82:83]
	v_mul_f64 v[136:137], v[72:73], s[40:41]
	v_add_f64 v[22:23], v[22:23], v[20:21]
	v_add_f64 v[32:33], v[32:33], v[16:17]
	v_fma_f64 v[106:107], v[60:61], s[40:41], v[106:107]
	v_fma_f64 v[177:178], v[60:61], s[20:21], v[110:111]
	;; [unrolled: 1-line block ×4, first 2 shown]
	v_fma_f64 v[112:113], v[62:63], s[22:23], -v[112:113]
	v_fma_f64 v[114:115], v[12:13], s[20:21], v[114:115]
	v_fma_f64 v[183:184], v[62:63], s[42:43], v[116:117]
	;; [unrolled: 1-line block ×3, first 2 shown]
	v_fma_f64 v[116:117], v[62:63], s[42:43], -v[116:117]
	v_fma_f64 v[118:119], v[12:13], s[36:37], v[118:119]
	v_fma_f64 v[189:190], v[12:13], s[26:27], v[122:123]
	;; [unrolled: 1-line block ×5, first 2 shown]
	v_add_f64 v[78:79], v[94:95], v[78:79]
	v_add_f64 v[80:81], v[96:97], v[80:81]
	;; [unrolled: 1-line block ×5, first 2 shown]
	v_fma_f64 v[124:125], v[62:63], s[8:9], -v[124:125]
	v_add_f64 v[22:23], v[22:23], v[30:31]
	v_add_f64 v[30:31], v[32:33], v[44:45]
	v_fma_f64 v[32:33], v[62:63], s[38:39], v[14:15]
	v_fma_f64 v[44:45], v[12:13], s[40:41], v[64:65]
	v_fma_f64 v[14:15], v[62:63], s[38:39], -v[14:15]
	v_fma_f64 v[126:127], v[12:13], s[0:1], v[126:127]
	v_fma_f64 v[195:196], v[62:63], s[18:19], v[128:129]
	v_fma_f64 v[197:198], v[12:13], s[10:11], v[130:131]
	v_fma_f64 v[128:129], v[62:63], s[18:19], -v[128:129]
	v_fma_f64 v[130:131], v[12:13], s[16:17], v[130:131]
	v_mul_f64 v[62:63], v[68:69], s[38:39]
	v_fma_f64 v[12:13], v[12:13], s[30:31], v[64:65]
	v_add_f64 v[102:103], v[50:51], v[20:21]
	v_add_f64 v[20:21], v[50:51], -v[20:21]
	v_add_f64 v[38:39], v[106:107], v[38:39]
	v_add_f64 v[64:65], v[193:194], v[96:97]
	v_mul_f64 v[96:97], v[68:69], s[8:9]
	v_add_f64 v[22:23], v[22:23], v[34:35]
	v_add_f64 v[30:31], v[30:31], v[48:49]
	;; [unrolled: 1-line block ×16, first 2 shown]
	v_fma_f64 v[100:101], v[70:71], s[30:31], v[62:63]
	v_fma_f64 v[62:63], v[70:71], s[40:41], v[62:63]
	v_add_f64 v[38:39], v[126:127], v[38:39]
	v_add_f64 v[22:23], v[22:23], v[58:59]
	;; [unrolled: 1-line block ×19, first 2 shown]
	v_fma_f64 v[90:91], v[66:67], s[28:29], -v[132:133]
	v_fma_f64 v[92:93], v[70:71], s[26:27], v[134:135]
	v_add_f64 v[34:35], v[108:109], v[34:35]
	v_add_f64 v[42:43], v[110:111], v[42:43]
	;; [unrolled: 1-line block ×4, first 2 shown]
	v_fma_f64 v[82:83], v[66:67], s[28:29], v[132:133]
	v_add_f64 v[2:3], v[30:31], v[98:99]
	v_add_f64 v[30:31], v[122:123], v[84:85]
	;; [unrolled: 1-line block ×3, first 2 shown]
	v_fma_f64 v[84:85], v[70:71], s[34:35], v[134:135]
	v_mul_f64 v[94:95], v[72:73], s[0:1]
	v_add_f64 v[32:33], v[32:33], v[48:49]
	v_add_f64 v[44:45], v[44:45], v[88:89]
	v_fma_f64 v[48:49], v[66:67], s[38:39], v[136:137]
	v_mul_f64 v[88:89], v[72:73], s[20:21]
	v_mul_f64 v[98:99], v[68:69], s[22:23]
	v_add_f64 v[14:15], v[14:15], v[40:41]
	v_add_f64 v[40:41], v[28:29], -v[16:17]
	v_add_f64 v[16:17], v[28:29], v[16:17]
	v_add_f64 v[12:13], v[12:13], v[54:55]
	v_mul_f64 v[28:29], v[72:73], s[44:45]
	v_fma_f64 v[54:55], v[66:67], s[38:39], -v[136:137]
	v_mul_f64 v[72:73], v[72:73], s[10:11]
	v_add_f64 v[26:27], v[90:91], v[26:27]
	v_add_f64 v[46:47], v[92:93], v[46:47]
	v_fma_f64 v[90:91], v[70:71], s[2:3], v[96:97]
	v_add_f64 v[52:53], v[124:125], v[52:53]
	v_add_f64 v[18:19], v[82:83], v[18:19]
	v_mul_f64 v[82:83], v[68:69], s[42:43]
	v_mul_f64 v[68:69], v[68:69], s[18:19]
	v_add_f64 v[86:87], v[197:198], v[86:87]
	v_add_f64 v[24:25], v[84:85], v[24:25]
	v_fma_f64 v[84:85], v[66:67], s[8:9], v[94:95]
	v_fma_f64 v[92:93], v[66:67], s[8:9], -v[94:95]
	v_fma_f64 v[94:95], v[70:71], s[0:1], v[96:97]
	v_add_f64 v[48:49], v[48:49], v[56:57]
	v_fma_f64 v[56:57], v[66:67], s[22:23], v[88:89]
	v_fma_f64 v[96:97], v[70:71], s[24:25], v[98:99]
	v_fma_f64 v[88:89], v[66:67], s[22:23], -v[88:89]
	v_mul_f64 v[104:105], v[40:41], s[30:31]
	v_mul_f64 v[50:51], v[16:17], s[38:39]
	v_add_f64 v[34:35], v[128:129], v[34:35]
	v_add_f64 v[42:43], v[130:131], v[42:43]
	;; [unrolled: 1-line block ×3, first 2 shown]
	v_fma_f64 v[100:101], v[66:67], s[42:43], v[28:29]
	v_add_f64 v[54:55], v[54:55], v[74:75]
	v_add_f64 v[62:63], v[62:63], v[76:77]
	v_fma_f64 v[28:29], v[66:67], s[42:43], -v[28:29]
	v_add_f64 v[58:59], v[175:176], v[154:155]
	v_fma_f64 v[98:99], v[70:71], s[20:21], v[98:99]
	v_fma_f64 v[74:75], v[70:71], s[36:37], v[82:83]
	;; [unrolled: 1-line block ×4, first 2 shown]
	v_fma_f64 v[66:67], v[66:67], s[18:19], -v[72:73]
	v_add_f64 v[78:79], v[84:85], v[78:79]
	v_fma_f64 v[84:85], v[70:71], s[16:17], v[68:69]
	v_fma_f64 v[68:69], v[70:71], s[10:11], v[68:69]
	v_mul_f64 v[70:71], v[40:41], s[24:25]
	v_add_f64 v[36:37], v[56:57], v[36:37]
	v_add_f64 v[56:57], v[96:97], v[64:65]
	v_mul_f64 v[72:73], v[16:17], s[22:23]
	v_fma_f64 v[64:65], v[102:103], s[38:39], v[104:105]
	v_add_f64 v[80:81], v[90:91], v[80:81]
	v_fma_f64 v[90:91], v[20:21], s[40:41], v[50:51]
	v_add_f64 v[52:53], v[88:89], v[52:53]
	v_mul_f64 v[88:89], v[40:41], s[16:17]
	v_add_f64 v[22:23], v[92:93], v[22:23]
	v_mul_f64 v[92:93], v[16:17], s[18:19]
	v_fma_f64 v[50:51], v[20:21], s[30:31], v[50:51]
	v_add_f64 v[28:29], v[28:29], v[34:35]
	v_add_f64 v[58:59], v[195:196], v[58:59]
	v_add_f64 v[30:31], v[94:95], v[30:31]
	v_add_f64 v[74:75], v[74:75], v[86:87]
	v_add_f64 v[34:35], v[76:77], v[42:43]
	v_fma_f64 v[42:43], v[102:103], s[38:39], -v[104:105]
	v_mul_f64 v[76:77], v[40:41], s[44:45]
	v_mul_f64 v[86:87], v[16:17], s[42:43]
	v_add_f64 v[14:15], v[66:67], v[14:15]
	v_add_f64 v[66:67], v[8:9], -v[10:11]
	v_add_f64 v[8:9], v[8:9], v[10:11]
	v_add_f64 v[12:13], v[68:69], v[12:13]
	v_fma_f64 v[68:69], v[102:103], s[22:23], -v[70:71]
	v_add_f64 v[32:33], v[82:83], v[32:33]
	v_add_f64 v[10:11], v[64:65], v[18:19]
	v_fma_f64 v[18:19], v[102:103], s[22:23], v[70:71]
	v_fma_f64 v[64:65], v[20:21], s[20:21], v[72:73]
	;; [unrolled: 1-line block ×3, first 2 shown]
	v_mul_f64 v[72:73], v[40:41], s[0:1]
	v_add_f64 v[24:25], v[90:91], v[24:25]
	v_mul_f64 v[90:91], v[16:17], s[8:9]
	v_fma_f64 v[82:83], v[102:103], s[18:19], v[88:89]
	v_fma_f64 v[88:89], v[102:103], s[18:19], -v[88:89]
	v_add_f64 v[44:45], v[84:85], v[44:45]
	v_fma_f64 v[84:85], v[20:21], s[10:11], v[92:93]
	v_fma_f64 v[92:93], v[20:21], s[16:17], v[92:93]
	v_mul_f64 v[40:41], v[40:41], s[26:27]
	v_add_f64 v[26:27], v[42:43], v[26:27]
	v_fma_f64 v[42:43], v[102:103], s[42:43], v[76:77]
	v_fma_f64 v[94:95], v[20:21], s[36:37], v[86:87]
	v_mul_f64 v[16:17], v[16:17], s[28:29]
	v_add_f64 v[38:39], v[98:99], v[38:39]
	v_add_f64 v[58:59], v[100:101], v[58:59]
	;; [unrolled: 1-line block ×4, first 2 shown]
	v_add_f64 v[50:51], v[4:5], -v[6:7]
	v_mul_f64 v[98:99], v[66:67], s[36:37]
	v_mul_f64 v[100:101], v[8:9], s[42:43]
	v_fma_f64 v[6:7], v[20:21], s[44:45], v[86:87]
	v_add_f64 v[18:19], v[18:19], v[48:49]
	v_add_f64 v[48:49], v[64:65], v[60:61]
	;; [unrolled: 1-line block ×3, first 2 shown]
	v_fma_f64 v[62:63], v[102:103], s[8:9], v[72:73]
	v_fma_f64 v[70:71], v[20:21], s[2:3], v[90:91]
	v_fma_f64 v[4:5], v[102:103], s[42:43], -v[76:77]
	v_add_f64 v[76:77], v[88:89], v[22:23]
	v_fma_f64 v[22:23], v[102:103], s[8:9], -v[72:73]
	v_add_f64 v[54:55], v[68:69], v[54:55]
	v_add_f64 v[64:65], v[82:83], v[78:79]
	;; [unrolled: 1-line block ×6, first 2 shown]
	v_fma_f64 v[42:43], v[20:21], s[0:1], v[90:91]
	v_fma_f64 v[56:57], v[102:103], s[28:29], v[40:41]
	;; [unrolled: 1-line block ×3, first 2 shown]
	v_fma_f64 v[40:41], v[102:103], s[28:29], -v[40:41]
	v_fma_f64 v[16:17], v[20:21], s[26:27], v[16:17]
	v_mul_f64 v[82:83], v[66:67], s[0:1]
	v_mul_f64 v[84:85], v[8:9], s[8:9]
	v_fma_f64 v[20:21], v[46:47], s[42:43], v[98:99]
	v_fma_f64 v[80:81], v[50:51], s[44:45], v[100:101]
	v_add_f64 v[86:87], v[6:7], v[38:39]
	v_mul_f64 v[38:39], v[66:67], s[30:31]
	v_mul_f64 v[88:89], v[8:9], s[38:39]
	v_add_f64 v[58:59], v[62:63], v[58:59]
	v_mul_f64 v[62:63], v[66:67], s[10:11]
	v_mul_f64 v[90:91], v[8:9], s[18:19]
	;; [unrolled: 3-line block ×4, first 2 shown]
	v_add_f64 v[52:53], v[4:5], v[52:53]
	v_add_f64 v[34:35], v[42:43], v[34:35]
	;; [unrolled: 1-line block ×6, first 2 shown]
	v_fma_f64 v[12:13], v[46:47], s[8:9], v[82:83]
	v_fma_f64 v[14:15], v[50:51], s[2:3], v[84:85]
	v_add_f64 v[4:5], v[20:21], v[10:11]
	v_add_f64 v[6:7], v[80:81], v[24:25]
	v_fma_f64 v[16:17], v[46:47], s[8:9], -v[82:83]
	v_fma_f64 v[20:21], v[46:47], s[38:39], v[38:39]
	v_fma_f64 v[24:25], v[50:51], s[40:41], v[88:89]
	v_fma_f64 v[28:29], v[46:47], s[38:39], -v[38:39]
	v_fma_f64 v[32:33], v[46:47], s[18:19], v[62:63]
	v_fma_f64 v[38:39], v[50:51], s[16:17], v[90:91]
	v_fma_f64 v[40:41], v[46:47], s[18:19], -v[62:63]
	v_fma_f64 v[44:45], v[46:47], s[28:29], v[74:75]
	v_fma_f64 v[62:63], v[50:51], s[34:35], v[92:93]
	v_fma_f64 v[10:11], v[46:47], s[42:43], -v[98:99]
	v_fma_f64 v[80:81], v[46:47], s[22:23], v[22:23]
	v_fma_f64 v[82:83], v[50:51], s[20:21], v[8:9]
	v_fma_f64 v[98:99], v[46:47], s[22:23], -v[22:23]
	v_fma_f64 v[102:103], v[50:51], s[24:25], v[8:9]
	v_fma_f64 v[74:75], v[46:47], s[28:29], -v[74:75]
	v_fma_f64 v[92:93], v[50:51], s[26:27], v[92:93]
	v_fma_f64 v[90:91], v[50:51], s[10:11], v[90:91]
	;; [unrolled: 1-line block ×5, first 2 shown]
	v_add_f64 v[12:13], v[12:13], v[18:19]
	v_add_f64 v[14:15], v[14:15], v[48:49]
	;; [unrolled: 1-line block ×22, first 2 shown]
	ds_write_b128 v236, v[0:3]
	ds_write_b128 v236, v[4:7] offset:544
	ds_write_b128 v236, v[12:15] offset:1088
	;; [unrolled: 1-line block ×12, first 2 shown]
	s_waitcnt lgkmcnt(0)
	s_barrier
	buffer_gl0_inv
	s_and_b32 exec_lo, exec_lo, vcc_lo
	s_cbranch_execz .LBB0_23
; %bb.22:
	buffer_load_dword v16, off, s[60:63], 0 ; 4-byte Folded Reload
	v_mad_u64_u32 v[14:15], null, s6, v156, 0
	s_mov_b32 s0, 0x1288b013
	s_mov_b32 s1, 0x3f6288b0
	s_mul_i32 s2, s5, 0x1a0
	s_mul_hi_u32 s6, s4, 0x1a0
	s_mul_i32 s3, s4, 0x1a0
	s_add_i32 s2, s6, s2
	s_waitcnt vmcnt(0)
	v_lshlrev_b32_e32 v18, 4, v16
	global_load_dwordx4 v[0:3], v18, s[12:13]
	ds_read_b128 v[4:7], v236
	ds_read_b128 v[8:11], v236 offset:416
	v_add_co_u32 v20, s6, s12, v18
	v_add_co_ci_u32_e64 v21, null, s13, 0, s6
	s_waitcnt vmcnt(0) lgkmcnt(1)
	v_mul_f64 v[12:13], v[6:7], v[2:3]
	v_mul_f64 v[2:3], v[4:5], v[2:3]
	v_fma_f64 v[4:5], v[4:5], v[0:1], v[12:13]
	v_fma_f64 v[0:1], v[0:1], v[6:7], -v[2:3]
	v_mad_u64_u32 v[6:7], null, s4, v16, 0
	v_mov_b32_e32 v2, v15
	v_mov_b32_e32 v3, v7
	v_mad_u64_u32 v[12:13], null, s7, v156, v[2:3]
	v_mad_u64_u32 v[16:17], null, s5, v16, v[3:4]
	v_mov_b32_e32 v15, v12
	v_mul_f64 v[2:3], v[4:5], s[0:1]
	v_mul_f64 v[4:5], v[0:1], s[0:1]
	v_lshlrev_b64 v[0:1], 4, v[14:15]
	v_mov_b32_e32 v7, v16
	v_add_co_u32 v0, vcc_lo, s14, v0
	v_lshlrev_b64 v[6:7], 4, v[6:7]
	v_add_co_ci_u32_e32 v1, vcc_lo, s15, v1, vcc_lo
	v_add_co_u32 v6, vcc_lo, v0, v6
	v_add_co_ci_u32_e32 v7, vcc_lo, v1, v7, vcc_lo
	v_add_co_u32 v14, vcc_lo, v6, s3
	global_store_dwordx4 v[6:7], v[2:5], off
	global_load_dwordx4 v[2:5], v18, s[12:13] offset:416
	v_add_co_ci_u32_e32 v15, vcc_lo, s2, v7, vcc_lo
	s_waitcnt vmcnt(0) lgkmcnt(0)
	v_mul_f64 v[12:13], v[10:11], v[4:5]
	v_mul_f64 v[4:5], v[8:9], v[4:5]
	v_fma_f64 v[8:9], v[8:9], v[2:3], v[12:13]
	v_fma_f64 v[4:5], v[2:3], v[10:11], -v[4:5]
	v_mul_f64 v[2:3], v[8:9], s[0:1]
	v_mul_f64 v[4:5], v[4:5], s[0:1]
	global_store_dwordx4 v[14:15], v[2:5], off
	global_load_dwordx4 v[2:5], v18, s[12:13] offset:832
	ds_read_b128 v[6:9], v236 offset:832
	ds_read_b128 v[10:13], v236 offset:1248
	s_waitcnt vmcnt(0) lgkmcnt(1)
	v_mul_f64 v[16:17], v[8:9], v[4:5]
	v_mul_f64 v[4:5], v[6:7], v[4:5]
	v_fma_f64 v[6:7], v[6:7], v[2:3], v[16:17]
	v_fma_f64 v[4:5], v[2:3], v[8:9], -v[4:5]
	v_mul_f64 v[2:3], v[6:7], s[0:1]
	v_mul_f64 v[4:5], v[4:5], s[0:1]
	v_add_co_u32 v6, vcc_lo, v14, s3
	v_add_co_ci_u32_e32 v7, vcc_lo, s2, v15, vcc_lo
	v_add_co_u32 v14, vcc_lo, v6, s3
	v_add_co_ci_u32_e32 v15, vcc_lo, s2, v7, vcc_lo
	global_store_dwordx4 v[6:7], v[2:5], off
	global_load_dwordx4 v[2:5], v18, s[12:13] offset:1248
	s_waitcnt vmcnt(0) lgkmcnt(0)
	v_mul_f64 v[8:9], v[12:13], v[4:5]
	v_mul_f64 v[4:5], v[10:11], v[4:5]
	v_fma_f64 v[8:9], v[10:11], v[2:3], v[8:9]
	v_fma_f64 v[4:5], v[2:3], v[12:13], -v[4:5]
	v_mul_f64 v[2:3], v[8:9], s[0:1]
	v_mul_f64 v[4:5], v[4:5], s[0:1]
	global_store_dwordx4 v[14:15], v[2:5], off
	global_load_dwordx4 v[2:5], v18, s[12:13] offset:1664
	ds_read_b128 v[6:9], v236 offset:1664
	ds_read_b128 v[10:13], v236 offset:2080
	s_waitcnt vmcnt(0) lgkmcnt(1)
	v_mul_f64 v[16:17], v[8:9], v[4:5]
	v_mul_f64 v[4:5], v[6:7], v[4:5]
	v_fma_f64 v[6:7], v[6:7], v[2:3], v[16:17]
	v_fma_f64 v[4:5], v[2:3], v[8:9], -v[4:5]
	v_mul_f64 v[2:3], v[6:7], s[0:1]
	v_mul_f64 v[4:5], v[4:5], s[0:1]
	v_add_co_u32 v6, vcc_lo, v14, s3
	v_add_co_ci_u32_e32 v7, vcc_lo, s2, v15, vcc_lo
	v_add_co_u32 v14, vcc_lo, 0x800, v20
	v_add_co_ci_u32_e32 v15, vcc_lo, 0, v21, vcc_lo
	v_add_co_u32 v16, vcc_lo, v6, s3
	v_add_co_ci_u32_e32 v17, vcc_lo, s2, v7, vcc_lo
	global_store_dwordx4 v[6:7], v[2:5], off
	global_load_dwordx4 v[2:5], v[14:15], off offset:32
	s_waitcnt vmcnt(0) lgkmcnt(0)
	v_mul_f64 v[8:9], v[12:13], v[4:5]
	v_mul_f64 v[4:5], v[10:11], v[4:5]
	v_fma_f64 v[8:9], v[10:11], v[2:3], v[8:9]
	v_fma_f64 v[4:5], v[2:3], v[12:13], -v[4:5]
	v_mul_f64 v[2:3], v[8:9], s[0:1]
	v_mul_f64 v[4:5], v[4:5], s[0:1]
	global_store_dwordx4 v[16:17], v[2:5], off
	global_load_dwordx4 v[2:5], v[14:15], off offset:448
	ds_read_b128 v[6:9], v236 offset:2496
	ds_read_b128 v[10:13], v236 offset:2912
	s_waitcnt vmcnt(0) lgkmcnt(1)
	v_mul_f64 v[18:19], v[8:9], v[4:5]
	v_mul_f64 v[4:5], v[6:7], v[4:5]
	v_fma_f64 v[6:7], v[6:7], v[2:3], v[18:19]
	v_fma_f64 v[4:5], v[2:3], v[8:9], -v[4:5]
	v_mul_f64 v[2:3], v[6:7], s[0:1]
	v_mul_f64 v[4:5], v[4:5], s[0:1]
	v_add_co_u32 v6, vcc_lo, v16, s3
	v_add_co_ci_u32_e32 v7, vcc_lo, s2, v17, vcc_lo
	v_add_co_u32 v16, vcc_lo, v6, s3
	v_add_co_ci_u32_e32 v17, vcc_lo, s2, v7, vcc_lo
	global_store_dwordx4 v[6:7], v[2:5], off
	global_load_dwordx4 v[2:5], v[14:15], off offset:864
	s_waitcnt vmcnt(0) lgkmcnt(0)
	v_mul_f64 v[8:9], v[12:13], v[4:5]
	v_mul_f64 v[4:5], v[10:11], v[4:5]
	v_fma_f64 v[8:9], v[10:11], v[2:3], v[8:9]
	v_fma_f64 v[4:5], v[2:3], v[12:13], -v[4:5]
	v_mul_f64 v[2:3], v[8:9], s[0:1]
	v_mul_f64 v[4:5], v[4:5], s[0:1]
	global_store_dwordx4 v[16:17], v[2:5], off
	global_load_dwordx4 v[2:5], v[14:15], off offset:1280
	ds_read_b128 v[6:9], v236 offset:3328
	ds_read_b128 v[10:13], v236 offset:3744
	s_waitcnt vmcnt(0) lgkmcnt(1)
	v_mul_f64 v[18:19], v[8:9], v[4:5]
	v_mul_f64 v[4:5], v[6:7], v[4:5]
	v_fma_f64 v[6:7], v[6:7], v[2:3], v[18:19]
	v_fma_f64 v[4:5], v[2:3], v[8:9], -v[4:5]
	v_mul_f64 v[2:3], v[6:7], s[0:1]
	v_mul_f64 v[4:5], v[4:5], s[0:1]
	v_add_co_u32 v6, vcc_lo, v16, s3
	v_add_co_ci_u32_e32 v7, vcc_lo, s2, v17, vcc_lo
	global_store_dwordx4 v[6:7], v[2:5], off
	global_load_dwordx4 v[2:5], v[14:15], off offset:1696
	v_add_co_u32 v14, vcc_lo, v6, s3
	v_add_co_ci_u32_e32 v15, vcc_lo, s2, v7, vcc_lo
	v_add_co_u32 v16, vcc_lo, 0x1000, v20
	v_add_co_ci_u32_e32 v17, vcc_lo, 0, v21, vcc_lo
	s_waitcnt vmcnt(0) lgkmcnt(0)
	v_mul_f64 v[8:9], v[12:13], v[4:5]
	v_mul_f64 v[4:5], v[10:11], v[4:5]
	v_fma_f64 v[8:9], v[10:11], v[2:3], v[8:9]
	v_fma_f64 v[4:5], v[2:3], v[12:13], -v[4:5]
	v_mul_f64 v[2:3], v[8:9], s[0:1]
	v_mul_f64 v[4:5], v[4:5], s[0:1]
	global_store_dwordx4 v[14:15], v[2:5], off
	global_load_dwordx4 v[2:5], v[16:17], off offset:64
	ds_read_b128 v[6:9], v236 offset:4160
	ds_read_b128 v[10:13], v236 offset:4576
	s_waitcnt vmcnt(0) lgkmcnt(1)
	v_mul_f64 v[18:19], v[8:9], v[4:5]
	v_mul_f64 v[4:5], v[6:7], v[4:5]
	v_fma_f64 v[6:7], v[6:7], v[2:3], v[18:19]
	v_fma_f64 v[4:5], v[2:3], v[8:9], -v[4:5]
	v_mul_f64 v[2:3], v[6:7], s[0:1]
	v_mul_f64 v[4:5], v[4:5], s[0:1]
	v_add_co_u32 v6, vcc_lo, v14, s3
	v_add_co_ci_u32_e32 v7, vcc_lo, s2, v15, vcc_lo
	v_add_co_u32 v14, vcc_lo, v6, s3
	v_add_co_ci_u32_e32 v15, vcc_lo, s2, v7, vcc_lo
	global_store_dwordx4 v[6:7], v[2:5], off
	global_load_dwordx4 v[2:5], v[16:17], off offset:480
	s_waitcnt vmcnt(0) lgkmcnt(0)
	v_mul_f64 v[8:9], v[12:13], v[4:5]
	v_mul_f64 v[4:5], v[10:11], v[4:5]
	v_fma_f64 v[8:9], v[10:11], v[2:3], v[8:9]
	v_fma_f64 v[4:5], v[2:3], v[12:13], -v[4:5]
	v_mul_f64 v[2:3], v[8:9], s[0:1]
	v_mul_f64 v[4:5], v[4:5], s[0:1]
	global_store_dwordx4 v[14:15], v[2:5], off
	global_load_dwordx4 v[2:5], v[16:17], off offset:896
	ds_read_b128 v[6:9], v236 offset:4992
	ds_read_b128 v[10:13], v236 offset:5408
	s_waitcnt vmcnt(0) lgkmcnt(1)
	v_mul_f64 v[18:19], v[8:9], v[4:5]
	v_mul_f64 v[4:5], v[6:7], v[4:5]
	v_fma_f64 v[6:7], v[6:7], v[2:3], v[18:19]
	v_fma_f64 v[4:5], v[2:3], v[8:9], -v[4:5]
	v_mul_f64 v[2:3], v[6:7], s[0:1]
	v_mul_f64 v[4:5], v[4:5], s[0:1]
	v_add_co_u32 v6, vcc_lo, v14, s3
	v_add_co_ci_u32_e32 v7, vcc_lo, s2, v15, vcc_lo
	v_add_co_u32 v14, vcc_lo, v6, s3
	v_add_co_ci_u32_e32 v15, vcc_lo, s2, v7, vcc_lo
	global_store_dwordx4 v[6:7], v[2:5], off
	global_load_dwordx4 v[2:5], v[16:17], off offset:1312
	;; [unrolled: 24-line block ×3, first 2 shown]
	v_add_co_u32 v6, vcc_lo, v6, s3
	v_add_co_ci_u32_e32 v7, vcc_lo, s2, v7, vcc_lo
	s_waitcnt vmcnt(0) lgkmcnt(0)
	v_mul_f64 v[8:9], v[12:13], v[4:5]
	v_mul_f64 v[4:5], v[10:11], v[4:5]
	v_fma_f64 v[8:9], v[10:11], v[2:3], v[8:9]
	v_fma_f64 v[4:5], v[2:3], v[12:13], -v[4:5]
	buffer_load_dword v12, off, s[60:63], 0 offset:240 ; 4-byte Folded Reload
	v_mul_f64 v[2:3], v[8:9], s[0:1]
	v_mul_f64 v[4:5], v[4:5], s[0:1]
	global_store_dwordx4 v[6:7], v[2:5], off
	s_waitcnt vmcnt(0)
	v_lshlrev_b32_e32 v8, 4, v12
	global_load_dwordx4 v[2:5], v8, s[12:13]
	ds_read_b128 v[6:9], v236 offset:6656
	s_waitcnt vmcnt(0) lgkmcnt(0)
	v_mul_f64 v[10:11], v[8:9], v[4:5]
	v_mul_f64 v[4:5], v[6:7], v[4:5]
	v_fma_f64 v[6:7], v[6:7], v[2:3], v[10:11]
	v_fma_f64 v[4:5], v[2:3], v[8:9], -v[4:5]
	v_mad_u64_u32 v[8:9], null, s4, v12, 0
	v_mov_b32_e32 v2, v9
	v_mad_u64_u32 v[9:10], null, s5, v12, v[2:3]
	v_mul_f64 v[2:3], v[6:7], s[0:1]
	v_mul_f64 v[4:5], v[4:5], s[0:1]
	v_lshlrev_b64 v[6:7], 4, v[8:9]
	v_add_co_u32 v0, vcc_lo, v0, v6
	v_add_co_ci_u32_e32 v1, vcc_lo, v1, v7, vcc_lo
	global_store_dwordx4 v[0:1], v[2:5], off
.LBB0_23:
	s_endpgm
	.section	.rodata,"a",@progbits
	.p2align	6, 0x0
	.amdhsa_kernel bluestein_single_fwd_len442_dim1_dp_op_CI_CI
		.amdhsa_group_segment_fixed_size 49504
		.amdhsa_private_segment_fixed_size 352
		.amdhsa_kernarg_size 104
		.amdhsa_user_sgpr_count 6
		.amdhsa_user_sgpr_private_segment_buffer 1
		.amdhsa_user_sgpr_dispatch_ptr 0
		.amdhsa_user_sgpr_queue_ptr 0
		.amdhsa_user_sgpr_kernarg_segment_ptr 1
		.amdhsa_user_sgpr_dispatch_id 0
		.amdhsa_user_sgpr_flat_scratch_init 0
		.amdhsa_user_sgpr_private_segment_size 0
		.amdhsa_wavefront_size32 1
		.amdhsa_uses_dynamic_stack 0
		.amdhsa_system_sgpr_private_segment_wavefront_offset 1
		.amdhsa_system_sgpr_workgroup_id_x 1
		.amdhsa_system_sgpr_workgroup_id_y 0
		.amdhsa_system_sgpr_workgroup_id_z 0
		.amdhsa_system_sgpr_workgroup_info 0
		.amdhsa_system_vgpr_workitem_id 0
		.amdhsa_next_free_vgpr 256
		.amdhsa_next_free_sgpr 64
		.amdhsa_reserve_vcc 1
		.amdhsa_reserve_flat_scratch 0
		.amdhsa_float_round_mode_32 0
		.amdhsa_float_round_mode_16_64 0
		.amdhsa_float_denorm_mode_32 3
		.amdhsa_float_denorm_mode_16_64 3
		.amdhsa_dx10_clamp 1
		.amdhsa_ieee_mode 1
		.amdhsa_fp16_overflow 0
		.amdhsa_workgroup_processor_mode 1
		.amdhsa_memory_ordered 1
		.amdhsa_forward_progress 0
		.amdhsa_shared_vgpr_count 0
		.amdhsa_exception_fp_ieee_invalid_op 0
		.amdhsa_exception_fp_denorm_src 0
		.amdhsa_exception_fp_ieee_div_zero 0
		.amdhsa_exception_fp_ieee_overflow 0
		.amdhsa_exception_fp_ieee_underflow 0
		.amdhsa_exception_fp_ieee_inexact 0
		.amdhsa_exception_int_div_zero 0
	.end_amdhsa_kernel
	.text
.Lfunc_end0:
	.size	bluestein_single_fwd_len442_dim1_dp_op_CI_CI, .Lfunc_end0-bluestein_single_fwd_len442_dim1_dp_op_CI_CI
                                        ; -- End function
	.section	.AMDGPU.csdata,"",@progbits
; Kernel info:
; codeLenInByte = 31520
; NumSgprs: 66
; NumVgprs: 256
; ScratchSize: 352
; MemoryBound: 0
; FloatMode: 240
; IeeeMode: 1
; LDSByteSize: 49504 bytes/workgroup (compile time only)
; SGPRBlocks: 8
; VGPRBlocks: 31
; NumSGPRsForWavesPerEU: 66
; NumVGPRsForWavesPerEU: 256
; Occupancy: 4
; WaveLimiterHint : 1
; COMPUTE_PGM_RSRC2:SCRATCH_EN: 1
; COMPUTE_PGM_RSRC2:USER_SGPR: 6
; COMPUTE_PGM_RSRC2:TRAP_HANDLER: 0
; COMPUTE_PGM_RSRC2:TGID_X_EN: 1
; COMPUTE_PGM_RSRC2:TGID_Y_EN: 0
; COMPUTE_PGM_RSRC2:TGID_Z_EN: 0
; COMPUTE_PGM_RSRC2:TIDIG_COMP_CNT: 0
	.text
	.p2alignl 6, 3214868480
	.fill 48, 4, 3214868480
	.type	__hip_cuid_5318eca3a0d7588b,@object ; @__hip_cuid_5318eca3a0d7588b
	.section	.bss,"aw",@nobits
	.globl	__hip_cuid_5318eca3a0d7588b
__hip_cuid_5318eca3a0d7588b:
	.byte	0                               ; 0x0
	.size	__hip_cuid_5318eca3a0d7588b, 1

	.ident	"AMD clang version 19.0.0git (https://github.com/RadeonOpenCompute/llvm-project roc-6.4.0 25133 c7fe45cf4b819c5991fe208aaa96edf142730f1d)"
	.section	".note.GNU-stack","",@progbits
	.addrsig
	.addrsig_sym __hip_cuid_5318eca3a0d7588b
	.amdgpu_metadata
---
amdhsa.kernels:
  - .args:
      - .actual_access:  read_only
        .address_space:  global
        .offset:         0
        .size:           8
        .value_kind:     global_buffer
      - .actual_access:  read_only
        .address_space:  global
        .offset:         8
        .size:           8
        .value_kind:     global_buffer
      - .actual_access:  read_only
        .address_space:  global
        .offset:         16
        .size:           8
        .value_kind:     global_buffer
      - .actual_access:  read_only
        .address_space:  global
        .offset:         24
        .size:           8
        .value_kind:     global_buffer
      - .actual_access:  read_only
        .address_space:  global
        .offset:         32
        .size:           8
        .value_kind:     global_buffer
      - .offset:         40
        .size:           8
        .value_kind:     by_value
      - .address_space:  global
        .offset:         48
        .size:           8
        .value_kind:     global_buffer
      - .address_space:  global
        .offset:         56
        .size:           8
        .value_kind:     global_buffer
      - .address_space:  global
        .offset:         64
        .size:           8
        .value_kind:     global_buffer
      - .address_space:  global
        .offset:         72
        .size:           8
        .value_kind:     global_buffer
      - .offset:         80
        .size:           4
        .value_kind:     by_value
      - .address_space:  global
        .offset:         88
        .size:           8
        .value_kind:     global_buffer
      - .address_space:  global
        .offset:         96
        .size:           8
        .value_kind:     global_buffer
    .group_segment_fixed_size: 49504
    .kernarg_segment_align: 8
    .kernarg_segment_size: 104
    .language:       OpenCL C
    .language_version:
      - 2
      - 0
    .max_flat_workgroup_size: 238
    .name:           bluestein_single_fwd_len442_dim1_dp_op_CI_CI
    .private_segment_fixed_size: 352
    .sgpr_count:     66
    .sgpr_spill_count: 0
    .symbol:         bluestein_single_fwd_len442_dim1_dp_op_CI_CI.kd
    .uniform_work_group_size: 1
    .uses_dynamic_stack: false
    .vgpr_count:     256
    .vgpr_spill_count: 130
    .wavefront_size: 32
    .workgroup_processor_mode: 1
amdhsa.target:   amdgcn-amd-amdhsa--gfx1030
amdhsa.version:
  - 1
  - 2
...

	.end_amdgpu_metadata
